;; amdgpu-corpus repo=ROCm/rocFFT kind=compiled arch=gfx1201 opt=O3
	.text
	.amdgcn_target "amdgcn-amd-amdhsa--gfx1201"
	.amdhsa_code_object_version 6
	.protected	bluestein_single_fwd_len119_dim1_half_op_CI_CI ; -- Begin function bluestein_single_fwd_len119_dim1_half_op_CI_CI
	.globl	bluestein_single_fwd_len119_dim1_half_op_CI_CI
	.p2align	8
	.type	bluestein_single_fwd_len119_dim1_half_op_CI_CI,@function
bluestein_single_fwd_len119_dim1_half_op_CI_CI: ; @bluestein_single_fwd_len119_dim1_half_op_CI_CI
; %bb.0:
	s_load_b128 s[4:7], s[0:1], 0x28
	v_mul_u32_u24_e32 v1, 0xf10, v0
	s_mov_b32 s2, exec_lo
	s_delay_alu instid0(VALU_DEP_1) | instskip(NEXT) | instid1(VALU_DEP_1)
	v_lshrrev_b32_e32 v1, 16, v1
	v_mad_co_u64_u32 v[4:5], null, ttmp9, 15, v[1:2]
	v_mov_b32_e32 v5, 0
	s_wait_kmcnt 0x0
	s_delay_alu instid0(VALU_DEP_1)
	v_cmpx_gt_u64_e64 s[4:5], v[4:5]
	s_cbranch_execz .LBB0_15
; %bb.1:
	v_mul_hi_u32 v2, 0x88888889, v4
	v_mul_lo_u16 v1, v1, 17
	s_clause 0x1
	s_load_b64 s[12:13], s[0:1], 0x0
	s_load_b64 s[14:15], s[0:1], 0x38
	s_delay_alu instid0(VALU_DEP_1) | instskip(NEXT) | instid1(VALU_DEP_3)
	v_sub_nc_u16 v0, v0, v1
	v_lshrrev_b32_e32 v2, 3, v2
	s_delay_alu instid0(VALU_DEP_2) | instskip(SKIP_1) | instid1(VALU_DEP_3)
	v_and_b32_e32 v26, 0xffff, v0
	v_cmp_gt_u16_e32 vcc_lo, 7, v0
	v_mul_lo_u32 v2, v2, 15
	s_delay_alu instid0(VALU_DEP_3) | instskip(SKIP_2) | instid1(VALU_DEP_4)
	v_lshlrev_b32_e32 v24, 2, v26
	v_or_b32_e32 v25, 56, v26
	v_or_b32_e32 v23, 0x70, v26
	v_sub_nc_u32_e32 v1, v4, v2
	s_delay_alu instid0(VALU_DEP_1) | instskip(NEXT) | instid1(VALU_DEP_1)
	v_mul_u32_u24_e32 v41, 0x77, v1
	v_lshlrev_b32_e32 v27, 2, v41
	s_and_saveexec_b32 s3, vcc_lo
	s_cbranch_execz .LBB0_3
; %bb.2:
	s_load_b64 s[4:5], s[0:1], 0x18
	s_wait_kmcnt 0x0
	s_load_b128 s[8:11], s[4:5], 0x0
	s_clause 0x7
	global_load_b32 v14, v24, s[12:13]
	global_load_b32 v15, v24, s[12:13] offset:28
	global_load_b32 v16, v24, s[12:13] offset:56
	;; [unrolled: 1-line block ×7, first 2 shown]
	s_wait_kmcnt 0x0
	v_mad_co_u64_u32 v[0:1], null, s10, v4, 0
	v_mad_co_u64_u32 v[2:3], null, s8, v26, 0
	;; [unrolled: 1-line block ×4, first 2 shown]
	s_mul_u64 s[4:5], s[8:9], 28
	s_delay_alu instid0(VALU_DEP_3) | instskip(NEXT) | instid1(VALU_DEP_4)
	v_mad_co_u64_u32 v[9:10], null, s11, v4, v[1:2]
	v_mad_co_u64_u32 v[10:11], null, s9, v26, v[3:4]
	s_delay_alu instid0(VALU_DEP_3) | instskip(NEXT) | instid1(VALU_DEP_4)
	v_mad_co_u64_u32 v[11:12], null, s9, v25, v[6:7]
	v_mov_b32_e32 v1, v8
	s_delay_alu instid0(VALU_DEP_2) | instskip(NEXT) | instid1(VALU_DEP_2)
	v_dual_mov_b32 v3, v10 :: v_dual_mov_b32 v6, v11
	v_mad_co_u64_u32 v[12:13], null, s9, v23, v[1:2]
	v_mov_b32_e32 v1, v9
	s_delay_alu instid0(VALU_DEP_3) | instskip(NEXT) | instid1(VALU_DEP_4)
	v_lshlrev_b64_e32 v[2:3], 2, v[2:3]
	v_lshlrev_b64_e32 v[5:6], 2, v[5:6]
	s_clause 0x8
	global_load_b32 v13, v24, s[12:13] offset:224
	global_load_b32 v22, v24, s[12:13] offset:252
	;; [unrolled: 1-line block ×9, first 2 shown]
	v_mov_b32_e32 v8, v12
	v_lshlrev_b64_e32 v[0:1], 2, v[0:1]
	s_delay_alu instid0(VALU_DEP_1) | instskip(NEXT) | instid1(VALU_DEP_1)
	v_add_co_u32 v9, s2, s6, v0
	v_add_co_ci_u32_e64 v10, s2, s7, v1, s2
	s_delay_alu instid0(VALU_DEP_4) | instskip(NEXT) | instid1(VALU_DEP_3)
	v_lshlrev_b64_e32 v[0:1], 2, v[7:8]
	v_add_co_u32 v2, s2, v9, v2
	s_wait_alu 0xf1ff
	s_delay_alu instid0(VALU_DEP_3)
	v_add_co_ci_u32_e64 v3, s2, v10, v3, s2
	v_add_co_u32 v5, s2, v9, v5
	s_wait_alu 0xf1ff
	v_add_co_ci_u32_e64 v6, s2, v10, v6, s2
	v_add_co_u32 v0, s2, v9, v0
	s_wait_alu 0xf1ff
	v_add_co_ci_u32_e64 v1, s2, v10, v1, s2
	s_clause 0x2
	global_load_b32 v11, v[2:3], off
	global_load_b32 v12, v[5:6], off
	;; [unrolled: 1-line block ×3, first 2 shown]
	s_wait_alu 0xfffe
	v_add_co_u32 v2, s2, v2, s4
	s_wait_alu 0xf1ff
	v_add_co_ci_u32_e64 v3, s2, s5, v3, s2
	s_delay_alu instid0(VALU_DEP_2) | instskip(SKIP_1) | instid1(VALU_DEP_2)
	v_add_co_u32 v5, s2, v2, s4
	s_wait_alu 0xf1ff
	v_add_co_ci_u32_e64 v6, s2, s5, v3, s2
	global_load_b32 v36, v[2:3], off
	v_add_co_u32 v0, s2, v5, s4
	global_load_b32 v37, v[5:6], off
	s_wait_alu 0xf1ff
	v_add_co_ci_u32_e64 v1, s2, s5, v6, s2
	global_load_b32 v38, v[0:1], off
	v_add_co_u32 v2, s2, v0, s4
	s_wait_alu 0xf1ff
	v_add_co_ci_u32_e64 v3, s2, s5, v1, s2
	s_delay_alu instid0(VALU_DEP_2) | instskip(SKIP_1) | instid1(VALU_DEP_2)
	v_add_co_u32 v7, s2, v2, s4
	s_wait_alu 0xf1ff
	v_add_co_ci_u32_e64 v8, s2, s5, v3, s2
	s_delay_alu instid0(VALU_DEP_2) | instskip(SKIP_1) | instid1(VALU_DEP_2)
	v_add_co_u32 v5, s2, v7, s4
	s_wait_alu 0xf1ff
	v_add_co_ci_u32_e64 v6, s2, s5, v8, s2
	global_load_b32 v39, v[2:3], off
	global_load_b32 v7, v[7:8], off
	v_add_co_u32 v9, s2, v5, s4
	s_wait_alu 0xf1ff
	v_add_co_ci_u32_e64 v10, s2, s5, v6, s2
	s_delay_alu instid0(VALU_DEP_1) | instskip(NEXT) | instid1(VALU_DEP_1)
	v_mad_co_u64_u32 v[0:1], null, s8, 56, v[9:10]
	v_mad_co_u64_u32 v[1:2], null, s9, 56, v[1:2]
	global_load_b32 v5, v[5:6], off
	global_load_b32 v6, v[9:10], off
	;; [unrolled: 1-line block ×3, first 2 shown]
	v_add_co_u32 v0, s2, v0, s4
	s_wait_alu 0xf1ff
	v_add_co_ci_u32_e64 v1, s2, s5, v1, s2
	s_delay_alu instid0(VALU_DEP_2) | instskip(SKIP_1) | instid1(VALU_DEP_2)
	v_add_co_u32 v2, s2, v0, s4
	s_wait_alu 0xf1ff
	v_add_co_ci_u32_e64 v3, s2, s5, v1, s2
	global_load_b32 v9, v[0:1], off
	v_add_co_u32 v0, s2, v2, s4
	s_wait_alu 0xf1ff
	v_add_co_ci_u32_e64 v1, s2, s5, v3, s2
	global_load_b32 v10, v[2:3], off
	v_add_co_u32 v2, s2, v0, s4
	s_wait_alu 0xf1ff
	v_add_co_ci_u32_e64 v3, s2, s5, v1, s2
	global_load_b32 v40, v[0:1], off
	v_add_co_u32 v0, s2, v2, s4
	s_wait_alu 0xf1ff
	v_add_co_ci_u32_e64 v1, s2, s5, v3, s2
	global_load_b32 v42, v[2:3], off
	v_add_co_u32 v2, s2, v0, s4
	s_wait_alu 0xf1ff
	v_add_co_ci_u32_e64 v3, s2, s5, v1, s2
	global_load_b32 v0, v[0:1], off
	global_load_b32 v1, v[2:3], off
	v_lshl_add_u32 v2, v26, 2, v27
	v_add_nc_u32_e32 v3, v27, v24
	s_wait_loadcnt 0x21
	v_lshrrev_b32_e32 v43, 16, v14
	s_wait_loadcnt 0x20
	v_lshrrev_b32_e32 v44, 16, v15
	;; [unrolled: 2-line block ×18, first 2 shown]
	v_mul_f16_e32 v61, v43, v11
	s_wait_loadcnt 0xf
	v_lshrrev_b32_e32 v62, 16, v12
	v_mul_f16_e32 v63, v51, v12
	s_wait_loadcnt 0xe
	v_lshrrev_b32_e32 v64, 16, v35
	v_mul_f16_e32 v43, v43, v60
	v_fma_f16 v60, v14, v60, -v61
	v_mul_f16_e32 v51, v51, v62
	v_mul_f16_e32 v65, v59, v35
	v_fma_f16 v62, v13, v62, -v63
	v_fmac_f16_e32 v43, v14, v11
	v_mul_f16_e32 v59, v59, v64
	v_fmac_f16_e32 v51, v13, v12
	s_wait_loadcnt 0xd
	v_lshrrev_b32_e32 v61, 16, v36
	v_mul_f16_e32 v66, v44, v36
	v_fma_f16 v63, v34, v64, -v65
	v_fmac_f16_e32 v59, v34, v35
	v_pack_b32_f16 v12, v43, v60
	v_mul_f16_e32 v11, v44, v61
	s_wait_loadcnt 0xc
	v_lshrrev_b32_e32 v44, 16, v37
	v_fma_f16 v14, v15, v61, -v66
	v_mul_f16_e32 v61, v45, v37
	s_wait_loadcnt 0xb
	v_lshrrev_b32_e32 v34, 16, v38
	v_fmac_f16_e32 v11, v15, v36
	v_mul_f16_e32 v13, v45, v44
	v_mul_f16_e32 v35, v46, v38
	v_fma_f16 v15, v16, v44, -v61
	ds_store_b32 v2, v12
	v_pack_b32_f16 v2, v11, v14
	v_fmac_f16_e32 v13, v16, v37
	v_mul_f16_e32 v11, v46, v34
	v_fma_f16 v16, v17, v34, -v35
	v_pack_b32_f16 v36, v51, v62
	s_delay_alu instid0(VALU_DEP_4) | instskip(NEXT) | instid1(VALU_DEP_4)
	v_pack_b32_f16 v13, v13, v15
	v_fmac_f16_e32 v11, v17, v38
	s_wait_loadcnt 0xa
	v_lshrrev_b32_e32 v12, 16, v39
	v_mul_f16_e32 v14, v47, v39
	s_wait_loadcnt 0x9
	v_mul_f16_e32 v17, v48, v7
	ds_store_2addr_b32 v3, v2, v13 offset0:7 offset1:14
	v_pack_b32_f16 v11, v11, v16
	v_mul_f16_e32 v15, v47, v12
	v_fma_f16 v12, v18, v12, -v14
	v_lshrrev_b32_e32 v14, 16, v7
	s_delay_alu instid0(VALU_DEP_3) | instskip(NEXT) | instid1(VALU_DEP_2)
	v_fmac_f16_e32 v15, v18, v39
	v_mul_f16_e32 v13, v48, v14
	v_fma_f16 v14, v19, v14, -v17
	s_delay_alu instid0(VALU_DEP_2)
	v_fmac_f16_e32 v13, v19, v7
	s_wait_loadcnt 0x8
	v_lshrrev_b32_e32 v2, 16, v5
	v_mul_f16_e32 v16, v49, v5
	s_wait_loadcnt 0x7
	v_lshrrev_b32_e32 v7, 16, v6
	v_pack_b32_f16 v13, v13, v14
	v_mul_f16_e32 v18, v49, v2
	v_fma_f16 v2, v20, v2, -v16
	s_delay_alu instid0(VALU_DEP_4) | instskip(NEXT) | instid1(VALU_DEP_3)
	v_mul_f16_e32 v14, v50, v7
	v_fmac_f16_e32 v18, v20, v5
	v_pack_b32_f16 v5, v15, v12
	v_mul_f16_e32 v12, v50, v6
	s_delay_alu instid0(VALU_DEP_4) | instskip(NEXT) | instid1(VALU_DEP_4)
	v_fmac_f16_e32 v14, v21, v6
	v_pack_b32_f16 v2, v18, v2
	ds_store_2addr_b32 v3, v11, v5 offset0:21 offset1:28
	s_wait_loadcnt 0x6
	v_lshrrev_b32_e32 v5, 16, v8
	v_fma_f16 v7, v21, v7, -v12
	s_wait_loadcnt 0x5
	v_lshrrev_b32_e32 v11, 16, v9
	ds_store_2addr_b32 v3, v13, v2 offset0:35 offset1:42
	v_mul_f16_e32 v2, v52, v8
	v_mul_f16_e32 v6, v52, v5
	;; [unrolled: 1-line block ×3, first 2 shown]
	v_pack_b32_f16 v7, v14, v7
	s_delay_alu instid0(VALU_DEP_4) | instskip(NEXT) | instid1(VALU_DEP_4)
	v_fma_f16 v2, v22, v5, -v2
	v_fmac_f16_e32 v6, v22, v8
	v_mul_f16_e32 v5, v53, v11
	v_fma_f16 v8, v28, v11, -v12
	s_wait_loadcnt 0x4
	v_lshrrev_b32_e32 v11, 16, v10
	v_mul_f16_e32 v12, v54, v10
	v_pack_b32_f16 v2, v6, v2
	v_fmac_f16_e32 v5, v28, v9
	s_wait_loadcnt 0x3
	v_lshrrev_b32_e32 v6, 16, v40
	v_mul_f16_e32 v9, v54, v11
	v_fma_f16 v11, v29, v11, -v12
	v_mul_f16_e32 v12, v55, v40
	v_pack_b32_f16 v5, v5, v8
	v_mul_f16_e32 v8, v55, v6
	v_fmac_f16_e32 v9, v29, v10
	s_wait_loadcnt 0x2
	v_lshrrev_b32_e32 v10, 16, v42
	v_fma_f16 v6, v30, v6, -v12
	v_mul_f16_e32 v12, v56, v42
	s_wait_loadcnt 0x1
	v_lshrrev_b32_e32 v13, 16, v0
	s_wait_loadcnt 0x0
	v_lshrrev_b32_e32 v15, 16, v1
	v_mul_f16_e32 v14, v56, v10
	v_mul_f16_e32 v17, v58, v1
	v_fma_f16 v10, v31, v10, -v12
	v_mul_f16_e32 v12, v57, v0
	v_mul_f16_e32 v16, v57, v13
	;; [unrolled: 1-line block ×3, first 2 shown]
	v_fmac_f16_e32 v8, v30, v40
	v_fmac_f16_e32 v14, v31, v42
	v_fma_f16 v12, v32, v13, -v12
	v_fmac_f16_e32 v16, v32, v0
	v_fma_f16 v0, v33, v15, -v17
	v_fmac_f16_e32 v18, v33, v1
	v_pack_b32_f16 v1, v9, v11
	v_pack_b32_f16 v6, v8, v6
	;; [unrolled: 1-line block ×6, first 2 shown]
	ds_store_2addr_b32 v3, v7, v36 offset0:49 offset1:56
	ds_store_2addr_b32 v3, v2, v5 offset0:63 offset1:70
	;; [unrolled: 1-line block ×5, first 2 shown]
.LBB0_3:
	s_or_b32 exec_lo, exec_lo, s3
	s_clause 0x1
	s_load_b64 s[2:3], s[0:1], 0x20
	s_load_b64 s[0:1], s[0:1], 0x8
	global_wb scope:SCOPE_SE
	s_wait_dscnt 0x0
	s_wait_kmcnt 0x0
	s_barrier_signal -1
	s_barrier_wait -1
	global_inv scope:SCOPE_SE
                                        ; implicit-def: $vgpr43
                                        ; implicit-def: $vgpr2
                                        ; implicit-def: $vgpr47
                                        ; implicit-def: $vgpr11
                                        ; implicit-def: $vgpr49
                                        ; implicit-def: $vgpr50
                                        ; implicit-def: $vgpr16
                                        ; implicit-def: $vgpr0
                                        ; implicit-def: $vgpr48
                                        ; implicit-def: $vgpr13
                                        ; implicit-def: $vgpr46
                                        ; implicit-def: $vgpr45
                                        ; implicit-def: $vgpr42
                                        ; implicit-def: $vgpr44
                                        ; implicit-def: $vgpr51
                                        ; implicit-def: $vgpr18
                                        ; implicit-def: $vgpr52
                                        ; implicit-def: $vgpr53
                                        ; implicit-def: $vgpr20
                                        ; implicit-def: $vgpr54
                                        ; implicit-def: $vgpr55
                                        ; implicit-def: $vgpr22
                                        ; implicit-def: $vgpr56
                                        ; implicit-def: $vgpr57
                                        ; implicit-def: $vgpr58
	s_and_saveexec_b32 s4, vcc_lo
	s_cbranch_execz .LBB0_5
; %bb.4:
	v_lshl_add_u32 v5, v41, 2, v24
	ds_load_2addr_b32 v[0:1], v5 offset1:7
	ds_load_2addr_b32 v[21:22], v5 offset0:14 offset1:21
	ds_load_2addr_b32 v[19:20], v5 offset0:28 offset1:35
	;; [unrolled: 1-line block ×7, first 2 shown]
	ds_load_b32 v42, v5 offset:448
	s_wait_dscnt 0x8
	v_lshrrev_b32_e32 v58, 16, v1
	s_wait_dscnt 0x7
	v_lshrrev_b32_e32 v57, 16, v21
	v_lshrrev_b32_e32 v56, 16, v22
	s_wait_dscnt 0x6
	v_lshrrev_b32_e32 v55, 16, v19
	;; [unrolled: 3-line block ×8, first 2 shown]
.LBB0_5:
	s_wait_alu 0xfffe
	s_or_b32 exec_lo, exec_lo, s4
	s_delay_alu instid0(VALU_DEP_1)
	v_sub_f16_e32 v9, v58, v44
	v_add_f16_e32 v72, v42, v1
	v_sub_f16_e32 v12, v57, v45
	v_add_f16_e32 v73, v14, v21
	v_sub_f16_e32 v28, v56, v46
	v_mul_f16_e32 v61, 0xb964, v9
	v_mul_f16_e32 v64, 0xbb29, v9
	v_mul_f16_e32 v62, 0xbbf7, v12
	v_mul_f16_e32 v66, 0xba62, v12
	v_mul_f16_e32 v76, 0xba62, v9
	v_fmamk_f16 v6, v72, 0x39e9, v61
	v_fmamk_f16 v8, v72, 0x3722, v64
	;; [unrolled: 1-line block ×4, first 2 shown]
	v_add_f16_e32 v75, v13, v22
	v_mul_f16_e32 v63, 0xba62, v28
	v_mul_f16_e32 v69, 0x31e1, v28
	v_sub_f16_e32 v29, v55, v48
	v_add_f16_e32 v6, v6, v0
	v_add_f16_e32 v8, v8, v0
	v_mul_f16_e32 v5, 0xb836, v9
	v_fmamk_f16 v32, v72, 0xb8d2, v76
	v_mul_f16_e32 v81, 0x3bb2, v12
	v_fmamk_f16 v78, v75, 0xb8d2, v63
	v_fmamk_f16 v84, v75, 0xbbdd, v69
	v_add_f16_e32 v77, v3, v19
	v_mul_f16_e32 v67, 0xb1e1, v29
	v_mul_f16_e32 v70, 0x3bb2, v29
	v_sub_f16_e32 v30, v54, v43
	v_add_f16_e32 v6, v35, v6
	v_add_f16_e32 v8, v40, v8
	v_fma_f16 v34, v72, 0xbacd, -v5
	v_fmac_f16_e32 v5, 0xbacd, v72
	v_mul_f16_e32 v39, 0x3b29, v12
	v_fmamk_f16 v74, v73, 0xb461, v81
	v_mul_f16_e32 v83, 0xb5c8, v28
	v_fmamk_f16 v89, v77, 0xbbdd, v67
	v_fmamk_f16 v92, v77, 0xb461, v70
	v_add_f16_e32 v80, v2, v20
	v_mul_f16_e32 v65, 0x3836, v30
	v_mul_f16_e32 v71, 0x3964, v30
	v_sub_f16_e32 v31, v53, v47
	v_add_f16_e32 v32, v32, v0
	v_add_f16_e32 v6, v78, v6
	v_add_f16_e32 v8, v84, v8
	v_fma_f16 v38, v73, 0x3722, -v39
	v_fmac_f16_e32 v39, 0x3722, v73
	v_mul_f16_e32 v86, 0xbbf7, v28
	v_fmamk_f16 v87, v75, 0x3b76, v83
	v_mul_f16_e32 v85, 0xb836, v29
	v_fmamk_f16 v94, v80, 0xbacd, v65
	v_fmamk_f16 v97, v80, 0x39e9, v71
	v_add_f16_e32 v82, v11, v17
	v_mul_f16_e32 v68, 0x3bb2, v31
	v_mul_f16_e32 v79, 0xb5c8, v31
	v_add_f16_e32 v5, v5, v0
	v_add_f16_e32 v35, v74, v32
	v_sub_f16_e32 v32, v52, v49
	v_add_f16_e32 v6, v89, v6
	v_add_f16_e32 v8, v92, v8
	v_fma_f16 v37, v75, 0x2de8, -v86
	v_fmac_f16_e32 v86, 0x2de8, v75
	v_mul_f16_e32 v91, 0x3a62, v29
	v_fmamk_f16 v93, v77, 0xbacd, v85
	v_mul_f16_e32 v88, 0x3bf7, v30
	v_fmamk_f16 v99, v82, 0xb461, v68
	v_fmamk_f16 v40, v82, 0x3b76, v79
	v_add_f16_e32 v5, v39, v5
	v_add_f16_e32 v90, v10, v18
	;; [unrolled: 1-line block ×3, first 2 shown]
	v_mul_f16_e32 v74, 0x3b29, v32
	v_mul_f16_e32 v84, 0xbbf7, v32
	v_add_f16_e32 v6, v94, v6
	v_sub_f16_e32 v35, v51, v50
	v_add_f16_e32 v8, v97, v8
	v_fma_f16 v36, v77, 0xb8d2, -v91
	v_fmac_f16_e32 v91, 0xb8d2, v77
	v_mul_f16_e32 v96, 0xb5c8, v30
	v_fmamk_f16 v98, v80, 0x2de8, v88
	v_mul_f16_e32 v95, 0xb964, v31
	v_add_f16_e32 v5, v86, v5
	v_fmamk_f16 v87, v90, 0x3722, v74
	v_fmamk_f16 v89, v90, 0x2de8, v84
	v_add_f16_e32 v92, v93, v78
	v_add_f16_e32 v93, v16, v15
	v_add_f16_e32 v6, v99, v6
	v_mul_f16_e32 v78, 0x35c8, v35
	v_add_f16_e32 v8, v40, v8
	v_mul_f16_e32 v86, 0xb836, v35
	v_fma_f16 v33, v80, 0x3b76, -v96
	v_fmac_f16_e32 v96, 0x3b76, v80
	v_fmamk_f16 v101, v82, 0x39e9, v95
	v_mul_f16_e32 v39, 0xb1e1, v31
	v_add_f16_e32 v40, v91, v5
	v_mul_f16_e32 v100, 0xb1e1, v32
	v_add_f16_e32 v5, v87, v6
	v_fmamk_f16 v6, v93, 0x3b76, v78
	v_add_f16_e32 v8, v89, v8
	v_fmamk_f16 v87, v93, 0xbacd, v86
	v_add_f16_e32 v89, v98, v92
	v_mul_f16_e32 v59, 0xb5c8, v9
	v_fma_f16 v106, v82, 0xbbdd, -v39
	v_mul_f16_e32 v91, 0x3964, v32
	v_fmac_f16_e32 v39, 0xbbdd, v82
	v_add_f16_e32 v6, v6, v5
	v_add_f16_e32 v5, v87, v8
	v_fmamk_f16 v8, v90, 0xbbdd, v100
	v_add_f16_e32 v40, v96, v40
	v_mul_f16_e32 v104, 0x3b29, v35
	v_add_f16_e32 v87, v101, v89
	v_fmamk_f16 v7, v72, 0x3b76, v59
	v_mul_f16_e32 v60, 0xb964, v12
	v_fma_f16 v125, v90, 0x39e9, -v91
	v_mul_f16_e32 v89, 0xbbb2, v35
	v_fmac_f16_e32 v91, 0x39e9, v90
	v_add_f16_e32 v39, v39, v40
	v_fmamk_f16 v40, v93, 0x3722, v104
	v_add_f16_e32 v8, v8, v87
	v_sub_f16_e32 v114, v1, v42
	v_fma_f16 v153, v93, 0xb461, -v89
	v_fmac_f16_e32 v89, 0xb461, v93
	v_add_f16_e32 v39, v91, v39
	v_fmamk_f16 v87, v73, 0x39e9, v60
	v_add_f16_e32 v91, v7, v0
	v_add_f16_e32 v8, v40, v8
	v_add_f16_e64 v129, v44, v58
	v_mul_f16_e32 v92, 0xb964, v114
	v_sub_f16_e32 v40, v21, v14
	v_add_f16_e32 v7, v89, v39
	v_add_f16_e32 v39, v87, v91
	v_mul_f16_e32 v97, 0xbb29, v114
	v_lshrrev_b32_e32 v87, 16, v0
	v_fma_f16 v89, v129, 0x39e9, -v92
	v_add_f16_e32 v121, v45, v57
	v_mul_f16_e32 v91, 0xbbf7, v40
	v_fma_f16 v94, v129, 0x3722, -v97
	v_mul_f16_e32 v98, 0xba62, v40
	v_add_f16_e32 v89, v89, v87
	v_mul_f16_e32 v107, 0xbbf7, v114
	v_fma_f16 v96, v121, 0x2de8, -v91
	v_mul_f16_e32 v111, 0xbbb2, v9
	v_add_f16_e32 v94, v94, v87
	v_fma_f16 v99, v121, 0xb8d2, -v98
	v_fma_f16 v101, v129, 0x2de8, -v107
	v_add_f16_e32 v96, v96, v89
	v_mul_f16_e32 v108, 0xb1e1, v40
	v_fmamk_f16 v89, v72, 0xb461, v111
	v_mul_f16_e64 v130, 0xbbb2, v114
	v_mul_f16_e64 v146, 0xba62, v114
	v_mul_f16_e32 v113, 0x3836, v12
	v_add_f16_e32 v94, v99, v94
	v_add_f16_e32 v99, v101, v87
	v_fma_f16 v101, v121, 0xbbdd, -v108
	v_add_f16_e32 v89, v89, v0
	v_fma_f16 v102, v129, 0xb461, -v130
	v_mul_f16_e64 v133, 0x3836, v40
	v_fma_f16 v103, v129, 0xb8d2, -v146
	v_mul_f16_e64 v147, 0x3bb2, v40
	v_fmamk_f16 v105, v73, 0xbacd, v113
	v_mul_f16_e32 v112, 0xb836, v114
	v_add_f16_e32 v102, v102, v87
	v_fma_f16 v109, v121, 0xbacd, -v133
	v_add_f16_e32 v103, v103, v87
	v_fma_f16 v110, v121, 0xb461, -v147
	v_add_f16_e32 v101, v101, v99
	v_add_f16_e32 v115, v105, v89
	v_fma_f16 v89, 0xbacd, v129, v112
	v_mul_f16_e32 v99, 0x3b29, v40
	v_fma_f16 v105, v129, 0xbacd, -v112
	v_add_f16_e32 v102, v109, v102
	v_add_f16_e32 v103, v110, v103
	;; [unrolled: 1-line block ×3, first 2 shown]
	v_mul_f16_e32 v109, 0xb1e1, v114
	v_add_f16_e32 v89, v89, v87
	v_fmamk_f16 v110, v121, 0x3722, v99
	v_fma_f16 v99, v121, 0x3722, -v99
	v_add_f16_e32 v105, v105, v87
	v_add_f16_e32 v34, v38, v34
	v_mul_f16_e32 v38, 0x35c8, v40
	v_add_f16_e32 v110, v110, v89
	v_sub_f16_e32 v119, v22, v13
	v_add_f16_e32 v116, v99, v105
	v_fma_f16 v105, v129, 0xbbdd, -v109
	v_mul_f16_e32 v89, 0xbb29, v28
	v_fma_f16 v112, 0xbbdd, v129, v109
	v_fmamk_f16 v117, v121, 0x3b76, v38
	v_add_f16_e64 v140, v46, v56
	v_mul_f16_e32 v99, 0xba62, v119
	v_fma_f16 v38, v121, 0x3b76, -v38
	v_add_f16_e32 v109, v105, v87
	v_mul_f16_e32 v105, 0x31e1, v119
	v_fmamk_f16 v118, v75, 0x3722, v89
	v_add_f16_e32 v112, v112, v87
	v_fma_f16 v120, v140, 0xb8d2, -v99
	v_add_f16_e32 v38, v38, v109
	v_fma_f16 v109, v140, 0xbbdd, -v105
	v_add_f16_e32 v39, v118, v39
	v_mul_f16_e32 v118, 0x3bb2, v119
	v_mul_f16_e64 v137, 0x3964, v28
	v_mul_f16_e64 v155, 0xb5c8, v119
	v_add_f16_e32 v112, v117, v112
	v_add_f16_e32 v96, v120, v96
	;; [unrolled: 1-line block ×3, first 2 shown]
	v_fma_f16 v94, v140, 0xb461, -v118
	v_fma_f16 v117, 0x39e9, v75, v137
	v_mul_f16_e32 v120, 0xbbf7, v119
	v_fma_f16 v123, v140, 0x3b76, -v155
	v_mul_f16_e64 v143, 0x3964, v119
	v_add_f16_e32 v101, v94, v101
	v_add_f16_e32 v115, v117, v115
	v_fma_f16 v94, 0x2de8, v140, v120
	v_add_f16_e32 v117, v123, v103
	v_fma_f16 v103, v140, 0x2de8, -v120
	v_sub_f16_e32 v123, v19, v3
	v_fma_f16 v122, v140, 0x39e9, -v143
	v_add_f16_e32 v34, v37, v34
	v_add_f16_e32 v37, v94, v110
	v_mul_f16_e32 v110, 0xb836, v119
	v_add_f16_e32 v116, v103, v116
	v_mul_f16_e32 v94, 0xbbf7, v29
	v_add_f16_e64 v145, v48, v55
	v_mul_f16_e32 v103, 0xb1e1, v123
	v_add_f16_e32 v102, v122, v102
	v_fma_f16 v120, 0xbacd, v140, v110
	v_fma_f16 v122, v140, 0xbacd, -v110
	v_mul_f16_e32 v110, 0x3bb2, v123
	v_fmamk_f16 v124, v77, 0x2de8, v94
	v_fma_f16 v126, v145, 0xbbdd, -v103
	v_mul_f16_e64 v131, 0x35c8, v123
	v_add_f16_e32 v112, v120, v112
	v_add_f16_e32 v38, v122, v38
	v_fma_f16 v120, v145, 0xb461, -v110
	v_add_f16_e32 v39, v124, v39
	v_add_f16_e32 v124, v126, v96
	v_mul_f16_e64 v142, 0xbb29, v29
	v_mul_f16_e64 v152, 0xbb29, v123
	v_fma_f16 v96, v145, 0x3b76, -v131
	v_mul_f16_e32 v122, 0x3a62, v123
	v_add_f16_e32 v109, v120, v109
	v_mul_f16_e64 v162, 0xb836, v123
	v_fma_f16 v120, 0x3722, v77, v142
	v_fma_f16 v126, v145, 0x3722, -v152
	v_add_f16_e32 v101, v96, v101
	v_fma_f16 v96, 0xb8d2, v145, v122
	v_fma_f16 v127, v145, 0xbacd, -v162
	v_add_f16_e32 v115, v120, v115
	v_add_f16_e32 v120, v126, v102
	v_fma_f16 v102, v145, 0xb8d2, -v122
	v_add_f16_e32 v34, v36, v34
	v_add_f16_e32 v36, v96, v37
	v_sub_f16_e32 v37, v20, v2
	v_mul_f16_e32 v122, 0x3964, v123
	v_add_f16_e32 v117, v127, v117
	v_add_f16_e32 v116, v102, v116
	v_add_f16_e64 v150, v43, v54
	v_mul_f16_e32 v102, 0x3836, v37
	v_fma_f16 v126, 0x39e9, v145, v122
	v_fma_f16 v127, v145, 0x39e9, -v122
	v_mul_f16_e32 v122, 0x3964, v37
	v_mul_f16_e32 v96, 0xbbb2, v30
	v_fma_f16 v132, v150, 0xbacd, -v102
	v_add_f16_e32 v112, v126, v112
	v_mul_f16_e64 v141, 0xbb29, v37
	v_fma_f16 v126, v150, 0x39e9, -v122
	v_mul_f16_e64 v151, 0xb1e1, v30
	v_fma_f16 v128, 0xb461, v80, v96
	v_add_f16_e32 v38, v127, v38
	v_add_f16_e64 v124, v132, v124
	v_mul_f16_e64 v158, 0xb1e1, v37
	v_add_f16_e32 v126, v126, v109
	v_fma_f16 v109, v150, 0x3722, -v141
	v_fma_f16 v127, 0xbbdd, v80, v151
	v_mul_f16_e64 v132, 0xb5c8, v37
	v_add_f16_e64 v39, v128, v39
	v_fma_f16 v128, v150, 0xbbdd, -v158
	v_add_f16_e64 v135, v109, v101
	v_add_f16_e32 v115, v127, v115
	v_fma_f16 v101, 0x3b76, v150, v132
	v_fma_f16 v109, v150, 0x3b76, -v132
	v_add_f16_e32 v33, v33, v34
	v_mul_f16_e32 v34, 0xba62, v37
	v_sub_f16_e32 v127, v17, v11
	v_add_f16_e64 v120, v128, v120
	v_add_f16_e32 v36, v101, v36
	v_add_f16_e32 v116, v109, v116
	v_mul_f16_e32 v101, 0xba62, v31
	v_fma_f16 v128, 0xb8d2, v150, v34
	v_add_f16_e64 v157, v47, v53
	v_mul_f16_e32 v109, 0x3bb2, v127
	v_mul_f16_e64 v180, 0x3bf7, v37
	v_fma_f16 v34, v150, 0xb8d2, -v34
	v_fma_f16 v132, 0xb8d2, v82, v101
	v_mul_f16_e64 v139, 0xb5c8, v127
	v_add_f16_e64 v128, v128, v112
	v_fma_f16 v112, v157, 0xb461, -v109
	v_mul_f16_e64 v148, 0xb836, v127
	v_fma_f16 v134, v150, 0x2de8, -v180
	v_add_f16_e32 v34, v34, v38
	v_add_f16_e64 v38, v132, v39
	v_fma_f16 v39, v157, 0x3b76, -v139
	v_add_f16_e32 v124, v112, v124
	v_mul_f16_e64 v156, 0x3bf7, v31
	v_mul_f16_e64 v170, 0x3bf7, v127
	v_fma_f16 v112, v157, 0xbacd, -v148
	v_mul_f16_e64 v183, 0xb964, v127
	v_add_f16_e64 v117, v134, v117
	v_add_f16_e32 v39, v39, v126
	v_fma_f16 v126, 0x2de8, v82, v156
	v_fma_f16 v132, v157, 0x2de8, -v170
	v_mul_f16_e64 v134, 0xb1e1, v127
	v_add_f16_e64 v135, v112, v135
	v_fma_f16 v112, v157, 0x39e9, -v183
	v_add_f16_e32 v126, v126, v115
	v_add_f16_e64 v132, v132, v120
	v_fma_f16 v115, 0xbbdd, v157, v134
	v_fma_f16 v120, v157, 0xbbdd, -v134
	v_add_f16_e64 v134, v112, v117
	v_mul_f16_e32 v112, 0x3b29, v127
	v_sub_f16_e64 v138, v18, v10
	v_add_f16_e32 v33, v106, v33
	v_add_f16_e32 v36, v115, v36
	v_add_f16_e64 v136, v120, v116
	v_fma_f16 v115, 0x3722, v157, v112
	v_fma_f16 v116, v157, 0x3722, -v112
	v_mul_f16_e32 v106, 0xb836, v32
	v_add_f16_e64 v161, v49, v52
	v_mul_f16_e64 v112, 0x3b29, v138
	v_mul_f16_e64 v144, 0xbbf7, v138
	v_add_f16_e64 v149, v115, v128
	v_add_f16_e32 v34, v116, v34
	v_fmamk_f16 v115, v90, 0xbacd, v106
	v_fma_f16 v116, v161, 0x3722, -v112
	v_fma_f16 v117, v161, 0x2de8, -v144
	v_mul_f16_e64 v154, 0x3a62, v138
	v_mul_f16_e64 v163, 0xb5c8, v32
	v_add_f16_e32 v38, v115, v38
	v_add_f16_e64 v182, v116, v124
	v_add_f16_e32 v39, v117, v39
	v_fma_f16 v116, v161, 0xb8d2, -v154
	v_fma_f16 v117, 0x3b76, v90, v163
	v_mul_f16_e32 v114, 0xb5c8, v114
	v_mul_f16_e64 v115, 0x3b76, v129
	v_pk_mul_f16 v159, 0x2de8bbdd, v72 op_sel_hi:[1,0]
	v_pk_mul_f16 v160, 0xbbf7b1e1, v9 op_sel_hi:[1,0]
	v_add_f16_e64 v9, v116, v135
	v_add_f16_e64 v189, v117, v126
	v_mul_f16_e32 v116, 0xb964, v40
	v_pack_b32_f16 v120, v115, v159
	v_pack_b32_f16 v124, v114, v160
	v_mul_f16_e32 v117, 0x39e9, v121
	v_pk_mul_f16 v164, 0xbbdd3b76, v73 op_sel_hi:[1,0]
	v_pk_mul_f16 v165, 0xb1e135c8, v12 op_sel_hi:[1,0]
	v_mul_f16_e64 v185, 0xb1e1, v138
	v_pk_add_f16 v40, v120, v124 neg_lo:[0,1] neg_hi:[0,1]
	v_mul_f16_e32 v119, 0xbb29, v119
	v_pack_b32_f16 v124, v117, v164
	v_pack_b32_f16 v126, v116, v165
	v_mul_f16_e64 v120, 0x3722, v140
	v_pk_mul_f16 v166, 0xb461bacd, v75 op_sel_hi:[1,0]
	v_pk_mul_f16 v168, 0x3bb2b836, v28 op_sel_hi:[1,0]
	v_fma_f16 v28, v161, 0xbbdd, -v185
	v_pk_add_f16 v124, v124, v126 neg_lo:[0,1] neg_hi:[0,1]
	v_pk_add_f16 v40, v40, v0 op_sel:[0,1] op_sel_hi:[1,0]
	v_pack_b32_f16 v126, v120, v166
	v_pack_b32_f16 v128, v119, v168
	v_mul_f16_e64 v135, 0x3964, v138
	v_mul_f16_e64 v181, 0xb5c8, v138
	v_add_f16_e64 v186, v28, v134
	v_pk_add_f16 v28, v124, v40
	v_pk_add_f16 v40, v126, v128 neg_lo:[0,1] neg_hi:[0,1]
	v_fma_f16 v126, 0x39e9, v161, v135
	v_mul_f16_e32 v123, 0xbbf7, v123
	v_mul_f16_e64 v124, 0x2de8, v145
	v_pk_mul_f16 v176, 0x3b7639e9, v77 op_sel_hi:[1,0]
	v_pk_mul_f16 v177, 0x35c83964, v29 op_sel_hi:[1,0]
	v_fma_f16 v12, v161, 0x3b76, -v181
	v_add_f16_e32 v29, v125, v33
	v_add_f16_e32 v36, v126, v36
	v_pk_add_f16 v28, v40, v28
	v_pack_b32_f16 v33, v124, v176
	v_pack_b32_f16 v40, v123, v177
	v_fma_f16 v128, v161, 0x39e9, -v135
	v_mul_f16_e32 v125, 0xbbb2, v37
	v_mul_f16_e64 v126, 0xb461, v150
	v_pk_mul_f16 v167, 0x3722b8d2, v80 op_sel_hi:[1,0]
	v_pk_mul_f16 v169, 0xbb29ba62, v30 op_sel_hi:[1,0]
	v_add_f16_e64 v12, v12, v132
	v_mul_f16_e64 v30, 0xbbb2, v138
	v_pk_add_f16 v33, v33, v40 neg_lo:[0,1] neg_hi:[0,1]
	v_add_f16_e64 v40, v128, v136
	v_pack_b32_f16 v37, v126, v167
	v_pack_b32_f16 v132, v125, v169
	v_mul_f16_e32 v127, 0xba62, v127
	v_mul_f16_e64 v128, 0xb8d2, v157
	v_pk_mul_f16 v173, 0xbacd3722, v82 op_sel_hi:[1,0]
	v_pk_mul_f16 v174, 0xb8363b29, v31 op_sel_hi:[1,0]
	v_fma_f16 v134, 0xb461, v161, v30
	v_pk_add_f16 v28, v33, v28
	v_pk_add_f16 v31, v37, v132 neg_lo:[0,1] neg_hi:[0,1]
	v_pack_b32_f16 v33, v128, v173
	v_pack_b32_f16 v37, v127, v174
	v_fma_f16 v30, v161, 0xb461, -v30
	v_mul_f16_e64 v132, 0xb836, v138
	v_mul_f16_e64 v135, 0xbacd, v161
	v_pk_mul_f16 v171, 0xb8d2b461, v90 op_sel_hi:[1,0]
	v_pk_mul_f16 v172, 0x3a62bbb2, v32 op_sel_hi:[1,0]
	v_add_f16_e64 v190, v134, v149
	v_pk_add_f16 v28, v31, v28
	v_pk_add_f16 v31, v33, v37 neg_lo:[0,1] neg_hi:[0,1]
	v_add_f16_e64 v191, v30, v34
	v_pack_b32_f16 v30, v135, v171
	v_pack_b32_f16 v32, v132, v172
	v_mul_f16_e64 v134, 0xb1e1, v35
	v_add_f16_e64 v184, v50, v51
	v_pk_add_f16 v31, v31, v28
	v_sub_f16_e32 v37, v15, v16
	v_pk_add_f16 v30, v30, v32 neg_lo:[0,1] neg_hi:[0,1]
	v_fma_f16 v28, 0xbbdd, v93, v134
	v_pk_fma_f16 v32, 0x2de8bbdd, v72, v160 op_sel_hi:[1,0,1]
	v_mul_f16_e64 v136, 0xbbdd, v184
	v_pk_mul_f16 v175, 0x39e92de8, v93 op_sel_hi:[1,0]
	v_mul_f16_e64 v138, 0xb1e1, v37
	v_pk_mul_f16 v178, 0x39643bf7, v35 op_sel_hi:[1,0]
	v_add_f16_e32 v28, v28, v38
	v_mul_f16_e64 v149, 0x35c8, v37
	v_pk_add_f16 v32, v32, v0 op_sel_hi:[1,0]
	v_pk_fma_f16 v38, 0xbbdd3b76, v73, v165 op_sel_hi:[1,0,1]
	v_pack_b32_f16 v33, v136, v175
	v_pack_b32_f16 v34, v138, v178
	v_pk_add_f16 v192, v30, v31
	v_fma_f16 v30, v184, 0x3b76, -v149
	v_mul_f16_e64 v179, 0xb836, v37
	v_pk_add_f16 v31, v38, v32
	v_pk_fma_f16 v32, 0xb461bacd, v75, v168 op_sel_hi:[1,0,1]
	v_pk_add_f16 v193, v33, v34 neg_lo:[0,1] neg_hi:[0,1]
	v_add_f16_e64 v30, v30, v182
	v_fma_f16 v33, v184, 0xbacd, -v179
	v_mul_f16_e64 v182, 0x3964, v37
	v_mul_f16_e64 v187, 0xba62, v37
	v_pk_add_f16 v32, v32, v31
	v_pk_fma_f16 v34, 0x3b7639e9, v77, v177 op_sel_hi:[1,0,1]
	v_add_f16_e32 v31, v33, v39
	v_fma_f16 v33, v184, 0x39e9, -v182
	v_mul_f16_e64 v188, 0x3b29, v37
	v_fma_f16 v38, v184, 0xb8d2, -v187
	v_pk_add_f16 v34, v34, v32
	v_pk_fma_f16 v39, 0x3722b8d2, v80, v169 op_sel_hi:[1,0,1]
	v_add_f16_e32 v32, v33, v9
	v_fma_f16 v9, v184, 0x3722, -v188
	v_mul_f16_e64 v194, 0xbbb2, v37
	v_add_f16_e32 v33, v38, v12
	v_pk_add_f16 v12, v39, v34
	v_pk_fma_f16 v38, 0xbacd3722, v82, v174 op_sel_hi:[1,0,1]
	v_add_f16_e64 v34, v9, v186
	v_fma_f16 v9, 0xb461, v184, v194
	v_fma_f16 v39, v184, 0xb461, -v194
	v_mul_f16_e64 v194, 0x3bf7, v37
	v_pk_add_f16 v12, v38, v12
	v_pk_fma_f16 v38, 0xb8d2b461, v90, v172 op_sel_hi:[1,0,1]
	v_mul_f16_e64 v186, 0xba62, v35
	v_add_f16_e32 v37, v9, v36
	v_fma_f16 v9, 0x2de8, v184, v194
	v_fma_f16 v194, v184, 0x2de8, -v194
	v_pk_add_f16 v12, v38, v12
	v_pk_fma_f16 v38, 0x39e92de8, v93, v178 op_sel_hi:[1,0,1]
	v_fma_f16 v195, 0xb8d2, v93, v186
	v_add_f16_e32 v36, v39, v40
	v_add_f16_e64 v39, v9, v190
	v_pk_add_f16 v35, v193, v192
	v_pk_add_f16 v40, v38, v12
	v_add_f16_e64 v38, v194, v191
	v_add_f16_e64 v9, v195, v189
	;; [unrolled: 1-line block ×3, first 2 shown]
	v_mul_lo_u16 v29, v26, 17
	global_wb scope:SCOPE_SE
	s_barrier_signal -1
	s_barrier_wait -1
	global_inv scope:SCOPE_SE
	s_and_saveexec_b32 s4, vcc_lo
	s_cbranch_execz .LBB0_7
; %bb.6:
	v_mul_f16_e64 v153, 0xb8d2, v129
	v_mul_f16_e64 v189, 0xb461, v121
	;; [unrolled: 1-line block ×5, first 2 shown]
	v_add_f16_e64 v146, v146, v153
	v_add_f16_e64 v147, v147, v189
	v_mul_f16_e64 v153, 0xbacd, v145
	v_add_f16_e64 v155, v155, v191
	v_mul_f16_e64 v191, 0x3722, v129
	;; [unrolled: 2-line block ×4, first 2 shown]
	v_mul_f16_e64 v189, 0x39e9, v157
	v_add_f16_e64 v146, v147, v146
	v_mul_f16_e64 v147, 0xb8d2, v72
	v_add_f16_e64 v129, v130, v129
	;; [unrolled: 2-line block ×3, first 2 shown]
	v_add_f16_e64 v146, v155, v146
	v_mul_f16_e64 v155, 0xb461, v73
	v_sub_f16_e64 v76, v147, v76
	v_add_f16_e64 v130, v133, v130
	v_add_f16_e64 v129, v129, v87
	;; [unrolled: 1-line block ×3, first 2 shown]
	v_mul_f16_e64 v153, 0x3b76, v75
	v_sub_f16_e64 v81, v155, v81
	v_add_f16_e32 v76, v76, v0
	v_add_f16_e64 v129, v130, v129
	v_mul_f16_e64 v130, 0x39e9, v82
	v_sub_f16_e64 v83, v153, v83
	v_mul_f16_e64 v195, 0xbbdd, v161
	v_add_f16_e32 v76, v81, v76
	v_add_f16_e64 v183, v183, v189
	v_add_f16_e64 v146, v162, v146
	v_sub_f16_e64 v95, v130, v95
	v_mul_f16_e64 v190, 0x3b76, v72
	v_add_f16_e32 v76, v83, v76
	v_mul_f16_e32 v83, 0xbacd, v77
	v_mul_f16_e64 v192, 0x39e9, v72
	v_mul_f16_e64 v196, 0x3722, v72
	v_mul_f16_e32 v72, 0xb461, v72
	v_add_f16_e64 v162, v185, v195
	v_sub_f16_e32 v83, v83, v85
	v_mul_f16_e32 v85, 0x2de8, v80
	v_add_f16_e64 v146, v183, v146
	v_mul_f16_e64 v180, 0x39e9, v73
	v_mul_f16_e64 v147, 0x2de8, v73
	v_add_f16_e32 v76, v83, v76
	v_mul_f16_e64 v83, 0x39e9, v140
	v_sub_f16_e32 v85, v85, v88
	v_mul_f16_e64 v155, 0x3722, v184
	v_add_f16_e64 v81, v162, v146
	v_mul_f16_e64 v146, 0xb8d2, v73
	v_add_f16_e64 v83, v143, v83
	v_add_f16_e32 v76, v85, v76
	v_mul_f16_e64 v85, 0x3722, v145
	v_mul_f16_e32 v73, 0xbacd, v73
	v_sub_f16_e32 v72, v72, v111
	v_add_f16_e64 v83, v83, v129
	v_add_f16_e32 v76, v95, v76
	v_add_f16_e64 v85, v152, v85
	v_mul_f16_e64 v95, 0xbbdd, v150
	v_add_f16_e64 v153, v188, v155
	v_mul_f16_e64 v133, 0x3722, v75
	v_mul_f16_e32 v88, 0xb8d2, v75
	v_add_f16_e32 v83, v85, v83
	v_add_f16_e64 v95, v158, v95
	v_mul_f16_e64 v130, 0xbbdd, v75
	v_mul_f16_e64 v152, 0xbbdd, v90
	v_mul_f16_e32 v75, 0x39e9, v75
	v_sub_f16_e32 v73, v73, v113
	v_add_f16_e32 v83, v95, v83
	v_mul_f16_e64 v95, 0x2de8, v157
	v_add_f16_e32 v72, v72, v0
	v_sub_f16_e64 v100, v152, v100
	v_mul_f16_e64 v152, 0x2de8, v77
	v_mul_f16_e32 v85, 0xbbdd, v77
	v_add_f16_e64 v81, v153, v81
	v_mul_f16_e64 v153, 0xb461, v77
	v_mul_f16_e32 v77, 0x3722, v77
	v_add_f16_e64 v95, v170, v95
	v_add_f16_e32 v72, v73, v72
	v_sub_f16_e64 v75, v75, v137
	v_mul_f16_e32 v111, 0x3722, v93
	v_mul_f16_e64 v162, 0xb461, v80
	v_mul_f16_e32 v113, 0xbacd, v80
	v_add_f16_e32 v83, v95, v83
	v_mul_f16_e32 v95, 0x39e9, v80
	v_mul_f16_e64 v73, 0x3b76, v161
	v_mul_f16_e32 v80, 0xbbdd, v80
	v_add_f16_e32 v72, v75, v72
	v_sub_f16_e64 v77, v77, v142
	v_add_f16_e32 v76, v100, v76
	v_sub_f16_e32 v104, v111, v104
	v_add_f16_e64 v73, v181, v73
	v_mul_f16_e64 v170, 0xb8d2, v82
	v_mul_f16_e64 v142, 0xb461, v82
	;; [unrolled: 1-line block ×3, first 2 shown]
	v_add_f16_e32 v72, v77, v72
	v_mul_f16_e32 v82, 0x2de8, v82
	v_sub_f16_e64 v80, v80, v151
	v_mul_f16_e64 v183, 0x2de8, v121
	v_mul_f16_e64 v155, 0xb8d2, v121
	v_mul_f16_e32 v121, 0xbbdd, v121
	v_mul_f16_e64 v151, 0xbacd, v90
	v_add_f16_e32 v76, v104, v76
	v_mul_f16_e32 v104, 0x3722, v90
	v_add_f16_e32 v72, v80, v72
	v_mul_f16_e32 v80, 0x2de8, v90
	v_add_f16_e64 v107, v107, v197
	v_mul_f16_e32 v90, 0x3b76, v90
	v_sub_f16_e64 v82, v82, v156
	v_mul_f16_e64 v143, 0xb8d2, v140
	v_mul_f16_e64 v129, 0xbbdd, v140
	;; [unrolled: 1-line block ×3, first 2 shown]
	v_add_f16_e32 v108, v108, v121
	v_add_f16_e32 v107, v107, v87
	;; [unrolled: 1-line block ×3, first 2 shown]
	v_sub_f16_e64 v90, v90, v163
	v_mul_f16_e64 v158, 0xbbdd, v145
	v_mul_f16_e64 v100, 0xb461, v145
	v_mul_f16_e64 v145, 0x3b76, v145
	v_add_f16_e32 v107, v108, v107
	v_add_f16_e64 v118, v118, v140
	v_alignbit_b32 v140, v0, v0, 16
	v_add_f16_e32 v72, v90, v72
	v_lshrrev_b32_e32 v90, 16, v160
	v_lshrrev_b32_e32 v159, 16, v159
	v_mul_f16_e64 v111, 0xbacd, v150
	v_mul_f16_e64 v137, 0x39e9, v150
	;; [unrolled: 1-line block ×5, first 2 shown]
	v_mul_f16_e32 v121, 0x3b76, v93
	v_mul_f16_e64 v163, 0xbacd, v93
	v_mul_f16_e32 v93, 0xb8d2, v93
	v_add_f16_e32 v107, v118, v107
	v_add_f16_e64 v118, v131, v145
	v_lshrrev_b32_e32 v131, 16, v165
	v_lshrrev_b32_e32 v145, 16, v164
	v_sub_f16_e64 v90, v159, v90
	v_lshrrev_b32_e32 v140, 16, v140
	v_add_f16_e32 v73, v73, v83
	v_mul_f16_e64 v83, 0xb461, v157
	v_add_f16_e64 v75, v187, v75
	v_mul_f16_e64 v77, 0x3b76, v157
	v_mul_f16_e64 v157, 0xbacd, v157
	v_sub_f16_e64 v93, v93, v186
	v_add_f16_e32 v107, v118, v107
	v_add_f16_e64 v118, v141, v150
	v_sub_f16_e64 v131, v145, v131
	v_add_f16_e64 v90, v90, v140
	v_lshrrev_b32_e32 v140, 16, v168
	v_lshrrev_b32_e32 v141, 16, v166
	v_add_f16_e64 v97, v97, v191
	v_add_f16_e32 v73, v75, v73
	v_mul_f16_e64 v75, 0x3722, v161
	v_mul_f16_e64 v185, 0x2de8, v161
	;; [unrolled: 1-line block ×3, first 2 shown]
	v_add_f16_e32 v72, v93, v72
	v_add_f16_e32 v93, v118, v107
	v_add_f16_e64 v107, v148, v157
	v_add_f16_e64 v90, v131, v90
	v_sub_f16_e64 v118, v141, v140
	v_lshrrev_b32_e32 v131, 16, v177
	v_lshrrev_b32_e32 v140, 16, v176
	v_add_f16_e32 v97, v97, v87
	v_add_f16_e64 v98, v98, v155
	v_mul_f16_e64 v82, 0x3b76, v184
	v_mul_f16_e64 v108, 0xbacd, v184
	;; [unrolled: 1-line block ×3, first 2 shown]
	v_add_f16_e32 v93, v107, v93
	v_add_f16_e64 v107, v154, v161
	v_add_f16_e32 v90, v118, v90
	v_sub_f16_e64 v118, v140, v131
	v_lshrrev_b32_e32 v131, 16, v169
	v_lshrrev_b32_e32 v140, 16, v167
	v_add_f16_e32 v97, v98, v97
	v_add_f16_e64 v98, v105, v129
	v_add_f16_e32 v93, v107, v93
	v_add_f16_e64 v107, v182, v184
	v_add_f16_e32 v90, v118, v90
	v_sub_f16_e64 v118, v140, v131
	v_lshrrev_b32_e32 v105, 16, v174
	v_lshrrev_b32_e32 v129, 16, v173
	v_add_f16_e32 v97, v98, v97
	v_add_f16_e32 v98, v110, v100
	v_sub_f16_e64 v64, v196, v64
	v_add_f16_e32 v93, v107, v93
	v_add_f16_e32 v90, v118, v90
	v_sub_f16_e64 v100, v129, v105
	v_lshrrev_b32_e32 v105, 16, v172
	v_lshrrev_b32_e32 v107, 16, v171
	v_add_f16_e32 v97, v98, v97
	v_add_f16_e64 v98, v122, v137
	v_add_f16_e32 v64, v64, v0
	v_sub_f16_e64 v66, v146, v66
	v_add_f16_e32 v90, v100, v90
	v_sub_f16_e32 v100, v107, v105
	v_add_f16_e32 v97, v98, v97
	v_add_f16_e64 v77, v139, v77
	v_add_f16_e32 v64, v66, v64
	v_sub_f16_e64 v66, v130, v69
	v_lshrrev_b32_e32 v69, 16, v178
	v_lshrrev_b32_e32 v98, 16, v175
	v_add_f16_e32 v77, v77, v97
	v_add_f16_e64 v97, v144, v185
	v_add_f16_e32 v64, v66, v64
	v_sub_f16_e64 v66, v153, v70
	v_add_f16_e32 v70, v100, v90
	v_sub_f16_e32 v69, v98, v69
	v_sub_f16_e64 v61, v192, v61
	v_add_f16_e32 v77, v97, v77
	v_add_f16_e64 v90, v179, v108
	v_add_f16_e32 v64, v66, v64
	v_sub_f16_e32 v66, v95, v71
	v_add_f16_e32 v69, v69, v70
	v_add_f16_e64 v70, v92, v194
	v_add_f16_e32 v61, v61, v0
	v_sub_f16_e64 v62, v147, v62
	v_add_f16_e32 v71, v90, v77
	v_add_f16_e32 v64, v66, v64
	v_sub_f16_e64 v66, v181, v79
	v_add_f16_e32 v70, v70, v87
	v_add_f16_e64 v77, v91, v183
	v_add_f16_e32 v61, v62, v61
	v_sub_f16_e32 v62, v88, v63
	v_add_f16_e32 v58, v58, v87
	v_add_f16_e32 v1, v1, v0
	v_add_f16_e32 v64, v66, v64
	v_sub_f16_e32 v66, v80, v84
	v_add_f16_e32 v70, v77, v70
	v_add_f16_e64 v77, v99, v143
	v_add_f16_e32 v61, v62, v61
	v_sub_f16_e32 v62, v85, v67
	v_add_f16_e32 v57, v57, v58
	v_add_f16_e32 v1, v21, v1
	;; [unrolled: 1-line block ×4, first 2 shown]
	v_add_f16_e64 v70, v103, v158
	v_add_f16_e32 v61, v62, v61
	v_sub_f16_e32 v21, v113, v65
	v_add_f16_e32 v56, v56, v57
	v_add_f16_e32 v1, v22, v1
	v_add_f16_e32 v66, v70, v66
	v_add_f16_e32 v67, v102, v111
	v_add_f16_e32 v21, v21, v61
	v_sub_f16_e64 v22, v142, v68
	v_add_f16_e32 v55, v55, v56
	v_add_f16_e32 v1, v19, v1
	;; [unrolled: 1-line block ×5, first 2 shown]
	v_sub_f16_e32 v22, v104, v74
	v_add_f16_e32 v54, v54, v55
	v_add_f16_e32 v1, v20, v1
	;; [unrolled: 1-line block ×7, first 2 shown]
	v_add_f16_e64 v20, v149, v82
	v_add_f16_e32 v19, v19, v57
	v_sub_f16_e32 v17, v121, v78
	v_add_f16_e32 v22, v52, v22
	v_add_f16_e32 v1, v18, v1
	v_sub_f16_e64 v18, v190, v59
	v_add_f16_e32 v19, v20, v19
	v_add_f16_e32 v20, v114, v115
	;; [unrolled: 1-line block ×8, first 2 shown]
	v_sub_f16_e64 v18, v180, v60
	v_add_f16_e32 v21, v50, v21
	v_add_f16_e32 v1, v16, v1
	;; [unrolled: 1-line block ×7, first 2 shown]
	v_sub_f16_e64 v10, v133, v89
	v_add_f16_e32 v15, v16, v15
	v_add_f16_e32 v16, v123, v124
	v_add_f16_e32 v18, v47, v18
	v_add_f16_e32 v1, v11, v1
	v_add_f16_e32 v0, v10, v0
	v_sub_f16_e64 v10, v152, v94
	v_add_f16_e32 v11, v16, v15
	v_add_f16_e32 v15, v43, v18
	;; [unrolled: 1-line block ×5, first 2 shown]
	v_sub_f16_e64 v10, v162, v96
	v_add_f16_e32 v15, v48, v15
	v_add_f16_e32 v1, v3, v1
	;; [unrolled: 1-line block ×3, first 2 shown]
	v_add_f16_e64 v3, v127, v128
	v_add_f16_e32 v0, v10, v0
	v_add_f16_e32 v10, v46, v15
	v_add_f16_e32 v1, v13, v1
	v_sub_f16_e64 v11, v170, v101
	v_add_f16_e32 v2, v3, v2
	v_add_f16_e64 v3, v132, v135
	v_add_f16_e32 v10, v45, v10
	v_add_f16_e32 v1, v14, v1
	;; [unrolled: 1-line block ×3, first 2 shown]
	v_sub_f16_e64 v11, v151, v106
	v_add_f16_e32 v2, v3, v2
	v_add_f16_e32 v3, v44, v10
	v_add_f16_e32 v1, v42, v1
	v_add_f16_e64 v10, v138, v136
	v_add_f16_e32 v0, v11, v0
	v_sub_f16_e64 v11, v156, v134
	v_sub_f16_e64 v64, v163, v86
	v_lshlrev_b32_e32 v3, 16, v3
	v_and_b32_e32 v1, 0xffff, v1
	v_and_b32_e32 v13, 0xffff, v29
	v_add_f16_e32 v2, v10, v2
	v_add_f16_e32 v0, v11, v0
	;; [unrolled: 1-line block ×3, first 2 shown]
	v_or_b32_e32 v1, v3, v1
	v_add_lshl_u32 v3, v41, v13, 2
	v_pack_b32_f16 v11, v17, v19
	v_pack_b32_f16 v0, v0, v2
	;; [unrolled: 1-line block ×6, first 2 shown]
	ds_store_b32 v3, v1
	ds_store_2addr_b32 v3, v0, v11 offset0:1 offset1:2
	ds_store_2addr_b32 v3, v2, v10 offset0:3 offset1:4
	;; [unrolled: 1-line block ×3, first 2 shown]
	v_perm_b32 v0, v37, v12, 0x5040100
	v_alignbit_b32 v1, v39, v35, 16
	v_perm_b32 v2, v36, v7, 0x5040100
	v_perm_b32 v10, v38, v40, 0x5040100
	;; [unrolled: 1-line block ×5, first 2 shown]
	v_alignbit_b32 v15, v32, v40, 16
	v_perm_b32 v16, v30, v6, 0x5040100
	v_perm_b32 v17, v35, v28, 0x5040100
	ds_store_2addr_b32 v3, v0, v1 offset0:7 offset1:8
	ds_store_2addr_b32 v3, v10, v2 offset0:9 offset1:10
	;; [unrolled: 1-line block ×5, first 2 shown]
.LBB0_7:
	s_wait_alu 0xfffe
	s_or_b32 exec_lo, exec_lo, s4
	v_mul_u32_u24_e32 v0, 6, v26
	s_load_b128 s[4:7], s[2:3], 0x0
	global_wb scope:SCOPE_SE
	s_wait_dscnt 0x0
	s_wait_kmcnt 0x0
	s_barrier_signal -1
	s_barrier_wait -1
	v_lshlrev_b32_e32 v10, 2, v0
	global_inv scope:SCOPE_SE
	v_add_lshl_u32 v22, v41, v26, 2
	v_lshl_add_u32 v21, v26, 2, v27
	s_clause 0x1
	global_load_b128 v[0:3], v10, s[0:1]
	global_load_b64 v[13:14], v10, s[0:1] offset:16
	ds_load_2addr_b32 v[10:11], v22 offset1:17
	ds_load_2addr_b32 v[15:16], v22 offset0:34 offset1:51
	ds_load_2addr_b32 v[17:18], v22 offset0:68 offset1:85
	ds_load_b32 v19, v22 offset:408
	s_wait_dscnt 0x3
	v_lshrrev_b32_e32 v20, 16, v11
	s_wait_dscnt 0x2
	v_lshrrev_b32_e32 v47, 16, v15
	;; [unrolled: 2-line block ×4, first 2 shown]
	v_lshrrev_b32_e32 v48, 16, v16
	v_lshrrev_b32_e32 v49, 16, v17
	;; [unrolled: 1-line block ×3, first 2 shown]
	s_wait_loadcnt 0x1
	v_lshrrev_b32_e32 v46, 16, v0
	v_lshrrev_b32_e32 v45, 16, v1
	s_wait_loadcnt 0x0
	v_lshrrev_b32_e32 v41, 16, v13
	v_lshrrev_b32_e32 v44, 16, v14
	;; [unrolled: 1-line block ×4, first 2 shown]
	v_mul_f16_e32 v53, v20, v46
	v_mul_f16_e32 v54, v11, v46
	;; [unrolled: 1-line block ×12, first 2 shown]
	v_fma_f16 v11, v11, v0, -v53
	v_fmac_f16_e32 v54, v20, v0
	v_fma_f16 v15, v15, v1, -v55
	v_fmac_f16_e32 v56, v47, v1
	;; [unrolled: 2-line block ×6, first 2 shown]
	v_add_f16_e32 v20, v11, v19
	v_add_f16_e32 v47, v54, v64
	;; [unrolled: 1-line block ×4, first 2 shown]
	v_sub_f16_e32 v11, v11, v19
	v_sub_f16_e32 v19, v54, v64
	;; [unrolled: 1-line block ×4, first 2 shown]
	v_add_f16_e32 v50, v16, v17
	v_add_f16_e32 v51, v58, v60
	v_sub_f16_e32 v16, v17, v16
	v_sub_f16_e32 v17, v60, v58
	v_add_f16_e32 v53, v48, v20
	v_add_f16_e32 v54, v49, v47
	v_sub_f16_e32 v55, v48, v20
	v_sub_f16_e32 v56, v49, v47
	;; [unrolled: 1-line block ×6, first 2 shown]
	v_add_f16_e32 v57, v16, v15
	v_add_f16_e32 v58, v17, v18
	v_sub_f16_e32 v59, v16, v15
	v_sub_f16_e32 v60, v17, v18
	;; [unrolled: 1-line block ×3, first 2 shown]
	v_add_f16_e32 v50, v50, v53
	v_add_f16_e32 v51, v51, v54
	v_sub_f16_e32 v18, v18, v19
	v_sub_f16_e32 v16, v11, v16
	;; [unrolled: 1-line block ×3, first 2 shown]
	v_add_f16_e32 v11, v57, v11
	v_add_f16_e32 v19, v58, v19
	v_mul_f16_e32 v20, 0x3a52, v20
	v_mul_f16_e32 v47, 0x3a52, v47
	;; [unrolled: 1-line block ×7, first 2 shown]
	v_add_f16_e32 v10, v50, v10
	v_add_f16_e32 v52, v51, v52
	v_mul_f16_e32 v60, 0x3b00, v18
	v_fmamk_f16 v48, v48, 0x2b26, v20
	v_fmamk_f16 v49, v49, 0x2b26, v47
	v_fma_f16 v53, v55, 0x39e0, -v53
	v_fma_f16 v54, v56, 0x39e0, -v54
	;; [unrolled: 1-line block ×4, first 2 shown]
	v_fmamk_f16 v55, v16, 0x3574, v57
	v_fmamk_f16 v56, v17, 0x3574, v58
	v_fma_f16 v57, v15, 0x3b00, -v57
	v_fma_f16 v59, v16, 0xb574, -v59
	v_lshlrev_b32_e32 v15, 16, v52
	v_and_b32_e32 v16, 0xffff, v10
	v_fmac_f16_e32 v10, 0xbcab, v50
	v_fmac_f16_e32 v52, 0xbcab, v51
	v_fma_f16 v58, v18, 0x3b00, -v58
	v_fma_f16 v60, v17, 0xb574, -v60
	v_fmac_f16_e32 v55, 0x370e, v11
	v_fmac_f16_e32 v56, 0x370e, v19
	v_fmac_f16_e32 v57, 0x370e, v11
	v_fmac_f16_e32 v59, 0x370e, v11
	v_add_f16_e32 v11, v48, v10
	v_add_f16_e32 v61, v49, v52
	v_fmac_f16_e32 v58, 0x370e, v19
	v_fmac_f16_e32 v60, 0x370e, v19
	v_add_f16_e32 v19, v53, v10
	v_add_f16_e32 v10, v20, v10
	;; [unrolled: 1-line block ×4, first 2 shown]
	v_or_b32_e32 v15, v15, v16
	v_add_f16_e32 v16, v56, v11
	v_sub_f16_e32 v52, v61, v55
	v_add_f16_e32 v17, v60, v10
	v_sub_f16_e32 v51, v47, v59
	v_sub_f16_e32 v18, v19, v58
	v_add_f16_e32 v50, v57, v20
	v_add_f16_e32 v19, v58, v19
	v_sub_f16_e32 v49, v20, v57
	v_sub_f16_e32 v20, v10, v60
	v_add_f16_e32 v48, v59, v47
	v_sub_f16_e32 v11, v11, v56
	v_add_f16_e32 v47, v55, v61
	v_pack_b32_f16 v10, v16, v52
	v_pack_b32_f16 v53, v17, v51
	;; [unrolled: 1-line block ×6, first 2 shown]
	ds_store_2addr_b32 v21, v15, v10 offset1:17
	ds_store_2addr_b32 v21, v53, v54 offset0:34 offset1:51
	ds_store_2addr_b32 v21, v55, v56 offset0:68 offset1:85
	ds_store_b32 v21, v57 offset:408
	global_wb scope:SCOPE_SE
	s_wait_dscnt 0x0
	s_barrier_signal -1
	s_barrier_wait -1
	global_inv scope:SCOPE_SE
	s_and_saveexec_b32 s2, vcc_lo
	s_cbranch_execz .LBB0_9
; %bb.8:
	s_add_nc_u64 s[0:1], s[12:13], 0x1dc
	s_clause 0x10
	global_load_b32 v10, v24, s[12:13] offset:476
	global_load_b32 v69, v24, s[0:1] offset:28
	;; [unrolled: 1-line block ×17, first 2 shown]
	ds_load_2addr_b32 v[53:54], v21 offset1:7
	ds_load_2addr_b32 v[55:56], v21 offset0:14 offset1:21
	ds_load_2addr_b32 v[57:58], v21 offset0:28 offset1:35
	;; [unrolled: 1-line block ×7, first 2 shown]
	ds_load_b32 v85, v21 offset:448
	s_wait_dscnt 0x8
	v_lshrrev_b32_e32 v86, 16, v53
	v_lshrrev_b32_e32 v87, 16, v54
	s_wait_dscnt 0x7
	v_lshrrev_b32_e32 v88, 16, v55
	v_lshrrev_b32_e32 v89, 16, v56
	;; [unrolled: 3-line block ×8, first 2 shown]
	s_wait_dscnt 0x0
	v_lshrrev_b32_e32 v102, 16, v85
	s_wait_loadcnt 0x10
	v_lshrrev_b32_e32 v103, 16, v10
	s_wait_loadcnt 0xf
	;; [unrolled: 2-line block ×17, first 2 shown]
	v_lshrrev_b32_e32 v119, 16, v84
	v_mul_f16_e32 v120, v86, v103
	v_mul_f16_e32 v103, v53, v103
	;; [unrolled: 1-line block ×16, first 2 shown]
	v_mul_f16_e64 v128, v94, v111
	v_mul_f16_e32 v111, v61, v111
	v_mul_f16_e64 v129, v95, v112
	v_mul_f16_e32 v112, v62, v112
	;; [unrolled: 2-line block ×9, first 2 shown]
	v_fma_f16 v53, v53, v10, -v120
	v_fmac_f16_e32 v103, v86, v10
	v_fma_f16 v10, v54, v69, -v121
	v_fmac_f16_e32 v104, v87, v69
	;; [unrolled: 2-line block ×17, first 2 shown]
	v_pack_b32_f16 v53, v53, v103
	v_pack_b32_f16 v10, v10, v104
	;; [unrolled: 1-line block ×17, first 2 shown]
	ds_store_2addr_b32 v21, v53, v10 offset1:7
	ds_store_2addr_b32 v21, v54, v55 offset0:14 offset1:21
	ds_store_2addr_b32 v21, v56, v57 offset0:28 offset1:35
	;; [unrolled: 1-line block ×7, first 2 shown]
	ds_store_b32 v21, v68 offset:448
.LBB0_9:
	s_wait_alu 0xfffe
	s_or_b32 exec_lo, exec_lo, s2
	global_wb scope:SCOPE_SE
	s_wait_dscnt 0x0
	s_barrier_signal -1
	s_barrier_wait -1
	global_inv scope:SCOPE_SE
	s_and_saveexec_b32 s0, vcc_lo
	s_cbranch_execz .LBB0_11
; %bb.10:
	ds_load_2addr_b32 v[15:16], v21 offset1:7
	ds_load_2addr_b32 v[17:18], v21 offset0:14 offset1:21
	ds_load_2addr_b32 v[19:20], v21 offset0:28 offset1:35
	;; [unrolled: 1-line block ×7, first 2 shown]
	ds_load_b32 v28, v21 offset:448
	s_wait_dscnt 0x8
	v_lshrrev_b32_e32 v52, 16, v16
	s_wait_dscnt 0x7
	v_lshrrev_b32_e32 v51, 16, v17
	v_lshrrev_b32_e32 v50, 16, v18
	s_wait_dscnt 0x6
	v_lshrrev_b32_e32 v49, 16, v19
	v_lshrrev_b32_e32 v48, 16, v20
	s_wait_dscnt 0x5
	v_lshrrev_b32_e32 v47, 16, v11
	v_lshrrev_b32_e32 v37, 16, v12
	s_wait_dscnt 0x4
	v_lshrrev_b32_e32 v39, 16, v53
	v_lshrrev_b32_e32 v38, 16, v54
	s_wait_dscnt 0x3
	v_lshrrev_b32_e32 v36, 16, v7
	v_lshrrev_b32_e32 v34, 16, v8
	s_wait_dscnt 0x2
	v_lshrrev_b32_e32 v33, 16, v9
	v_lshrrev_b32_e32 v32, 16, v10
	s_wait_dscnt 0x1
	v_lshrrev_b32_e32 v31, 16, v5
	v_lshrrev_b32_e32 v30, 16, v6
	v_perm_b32 v40, v10, v54, 0x5040100
	s_wait_dscnt 0x0
	v_alignbit_b32 v35, v53, v28, 16
.LBB0_11:
	s_wait_alu 0xfffe
	s_or_b32 exec_lo, exec_lo, s0
	global_wb scope:SCOPE_SE
	s_barrier_signal -1
	s_barrier_wait -1
	global_inv scope:SCOPE_SE
	s_and_saveexec_b32 s0, vcc_lo
	s_cbranch_execz .LBB0_13
; %bb.12:
	v_add_f16_e32 v105, v35, v52
	v_sub_f16_e32 v56, v16, v28
	v_add_f16_e32 v120, v30, v51
	v_lshrrev_b32_e32 v53, 16, v15
	v_sub_f16_e32 v54, v17, v6
	v_mul_f16_e32 v89, 0xbbdd, v105
	v_add_f16_e32 v109, v31, v50
	v_mul_f16_e32 v85, 0x3b76, v120
	v_sub_f16_e32 v55, v18, v5
	v_add_f16_e32 v107, v32, v49
	v_fmamk_f16 v57, v56, 0x31e1, v89
	v_lshrrev_b32_e32 v10, 16, v40
	v_mul_f16_e32 v83, 0xbacd, v109
	v_fmamk_f16 v58, v54, 0xb5c8, v85
	v_add_f16_e32 v108, v33, v48
	v_add_f16_e32 v60, v57, v53
	v_mul_f16_e32 v82, 0x39e9, v107
	v_sub_f16_e32 v59, v19, v10
	v_fmamk_f16 v61, v55, 0x3836, v83
	v_sub_f16_e32 v57, v20, v9
	v_add_f16_e32 v60, v58, v60
	v_mul_f16_e32 v84, 0xb8d2, v108
	v_fmamk_f16 v62, v59, 0xb964, v82
	v_sub_f16_e64 v169, v52, v35
	v_add_f16_e32 v110, v34, v47
	v_add_f16_e32 v60, v61, v60
	;; [unrolled: 1-line block ×3, first 2 shown]
	v_fmamk_f16 v63, v57, 0x3a62, v84
	v_mul_f16_e64 v95, 0xb1e1, v169
	v_sub_f16_e64 v170, v51, v30
	v_add_f16_e32 v60, v62, v60
	v_sub_f16_e32 v58, v11, v8
	v_mul_f16_e32 v86, 0x3722, v110
	v_add_f16_e32 v121, v36, v37
	v_add_f16_e32 v62, v6, v17
	;; [unrolled: 1-line block ×3, first 2 shown]
	v_fmamk_f16 v63, v61, 0xbbdd, v95
	v_mul_f16_e64 v99, 0x35c8, v170
	v_sub_f16_e64 v173, v50, v31
	v_fmamk_f16 v64, v58, 0xbb29, v86
	v_mul_f16_e32 v87, 0xb461, v121
	v_sub_f16_e32 v60, v12, v7
	v_add_f16_e32 v66, v63, v15
	v_fmamk_f16 v67, v62, 0x3b76, v99
	v_add_f16_e32 v63, v5, v18
	v_mul_f16_e64 v91, 0xb836, v173
	v_sub_f16_e64 v177, v49, v32
	v_add_f16_e32 v64, v64, v65
	v_fmamk_f16 v68, v60, 0x3bb2, v87
	v_add_f16_e32 v66, v67, v66
	v_fmamk_f16 v67, v63, 0xbacd, v91
	v_add_f16_e32 v65, v10, v19
	v_mul_f16_e64 v93, 0x3964, v177
	v_sub_f16_e64 v178, v48, v33
	v_add_f16_e32 v64, v68, v64
	v_add_f16_e32 v67, v67, v66
	;; [unrolled: 1-line block ×3, first 2 shown]
	v_fmamk_f16 v68, v65, 0x39e9, v93
	v_mul_f16_e64 v94, 0xba62, v178
	v_add_f16_e64 v175, v38, v39
	v_sub_f16_e64 v179, v47, v34
	v_lshrrev_b32_e32 v72, 16, v35
	v_add_f16_e32 v69, v68, v67
	v_fmamk_f16 v70, v66, 0xb8d2, v94
	v_add_f16_e32 v67, v8, v11
	v_mul_f16_e64 v96, 0x3b29, v179
	v_mul_f16_e64 v90, 0x2de8, v175
	v_sub_f16_e64 v181, v37, v36
	v_sub_f16_e32 v68, v72, v40
	v_add_f16_e32 v70, v70, v69
	v_fmamk_f16 v71, v67, 0x3722, v96
	v_add_f16_e32 v69, v7, v12
	v_mul_f16_e64 v102, 0xbbb2, v181
	v_fmamk_f16 v73, v68, 0xbbf7, v90
	v_sub_f16_e64 v141, v39, v38
	v_mul_f16_e32 v116, 0xbacd, v105
	v_add_f16_e32 v71, v71, v70
	v_fmamk_f16 v74, v69, 0xb461, v102
	v_add_f16_e32 v70, v40, v72
	v_mul_f16_e64 v100, 0x3bf7, v141
	v_add_f16_e32 v64, v73, v64
	v_fmamk_f16 v73, v56, 0x3836, v116
	v_mul_f16_e32 v117, 0x3722, v120
	v_add_f16_e32 v71, v74, v71
	v_fmamk_f16 v74, v70, 0x2de8, v100
	v_mul_f16_e64 v111, 0xb836, v169
	v_add_f16_e32 v73, v73, v53
	v_fmamk_f16 v75, v54, 0xbb29, v117
	v_mul_f16_e64 v138, 0x2de8, v109
	;; [unrolled: 3-line block ×3, first 2 shown]
	v_add_f16_e32 v73, v75, v73
	v_fma_f16 v75, 0x3bf7, v55, v138
	v_mul_f16_e64 v139, 0xb8d2, v107
	v_add_f16_e32 v74, v74, v15
	v_fmamk_f16 v76, v62, 0x3722, v112
	v_mul_f16_e64 v106, 0xbbf7, v173
	v_add_f16_e32 v73, v75, v73
	v_fma_f16 v75, 0xba62, v59, v139
	v_mul_f16_e64 v140, 0x3b76, v108
	v_add_f16_e32 v74, v76, v74
	v_fmamk_f16 v76, v63, 0x2de8, v106
	v_mul_f16_e64 v97, 0x3a62, v177
	v_add_f16_e32 v73, v75, v73
	v_fma_f16 v75, 0x35c8, v57, v140
	v_mul_f16_e32 v124, 0xbbdd, v110
	v_add_f16_e32 v74, v76, v74
	v_fmamk_f16 v76, v65, 0xb8d2, v97
	v_mul_f16_e64 v98, 0xb5c8, v178
	v_add_f16_e32 v73, v75, v73
	v_fmamk_f16 v75, v58, 0x31e1, v124
	v_mul_f16_e32 v115, 0x39e9, v121
	v_add_f16_e32 v74, v76, v74
	v_fmamk_f16 v76, v66, 0x3b76, v98
	v_mul_f16_e64 v101, 0xb1e1, v179
	v_add_f16_e32 v73, v75, v73
	v_fmamk_f16 v75, v60, 0xb964, v115
	v_mul_f16_e64 v92, 0xb461, v175
	;; [unrolled: 3-line block ×3, first 2 shown]
	v_add_f16_e32 v73, v75, v73
	v_fmamk_f16 v75, v68, 0x3bb2, v92
	v_mul_f16_e32 v126, 0xb8d2, v105
	v_add_f16_e32 v74, v76, v74
	v_fmamk_f16 v76, v69, 0x39e9, v103
	v_mul_f16_e64 v104, 0xbbb2, v141
	v_add_f16_e32 v73, v75, v73
	v_fmamk_f16 v75, v56, 0x3a62, v126
	v_mul_f16_e32 v114, 0xb461, v120
	v_add_f16_e32 v74, v76, v74
	v_fmamk_f16 v76, v70, 0xb461, v104
	v_mul_f16_e64 v144, 0xba62, v169
	v_add_f16_e32 v75, v75, v53
	v_fmamk_f16 v77, v54, 0xbbb2, v114
	v_mul_f16_e64 v128, 0x3b76, v109
	v_add_f16_e32 v74, v76, v74
	v_fma_f16 v76, 0xb8d2, v61, v144
	v_mul_f16_e64 v148, 0x3bb2, v170
	v_add_f16_e32 v75, v77, v75
	v_fma_f16 v77, 0x35c8, v55, v128
	;; [unrolled: 3-line block ×8, first 2 shown]
	v_mul_f16_e32 v125, 0xbbdd, v121
	v_add_f16_e32 v76, v78, v76
	v_fma_f16 v78, 0x2de8, v66, v160
	v_mul_f16_e64 v161, 0xb964, v179
	v_add_f16_e32 v75, v77, v75
	v_fmamk_f16 v77, v60, 0x31e1, v125
	v_mul_f16_e64 v113, 0x3722, v175
	v_add_f16_e32 v76, v78, v76
	v_fma_f16 v78, 0x39e9, v67, v161
	v_mul_f16_e64 v145, 0xb1e1, v181
	v_add_f16_e32 v75, v77, v75
	v_fmamk_f16 v77, v68, 0xbb29, v113
	v_mul_f16_e64 v166, 0xb461, v105
	v_add_f16_e32 v76, v78, v76
	v_fma_f16 v78, 0xbbdd, v69, v145
	v_mul_f16_e64 v119, 0x3b29, v141
	v_add_f16_e32 v75, v77, v75
	v_fma_f16 v77, 0x3bb2, v56, v166
	v_mul_f16_e32 v123, 0xbacd, v120
	v_add_f16_e32 v76, v78, v76
	v_fmamk_f16 v78, v70, 0x3722, v119
	v_mul_f16_e64 v172, 0xbbb2, v169
	v_add_f16_e32 v77, v77, v53
	v_fmamk_f16 v79, v54, 0xb836, v123
	v_mul_f16_e64 v129, 0x39e9, v109
	v_add_f16_e32 v76, v78, v76
	v_fma_f16 v78, 0xb461, v61, v172
	v_mul_f16_e64 v174, 0x3836, v170
	v_add_f16_e32 v77, v79, v77
	v_fma_f16 v79, 0xb964, v55, v129
	;; [unrolled: 3-line block ×8, first 2 shown]
	v_mul_f16_e32 v127, 0x3b76, v121
	v_add_f16_e32 v78, v80, v78
	v_fma_f16 v80, 0xbbdd, v66, v154
	v_mul_f16_e64 v155, 0x3bf7, v179
	v_add_f16_e32 v77, v79, v77
	v_fmamk_f16 v79, v60, 0x35c8, v127
	v_mul_f16_e64 v118, 0xb8d2, v175
	v_add_f16_e32 v78, v80, v78
	v_fma_f16 v80, 0x2de8, v67, v155
	v_mul_f16_e64 v156, 0xb5c8, v181
	v_add_f16_e32 v77, v79, v77
	v_fmamk_f16 v79, v68, 0x3a62, v118
	v_mul_f16_e64 v189, 0x2de8, v105
	v_add_f16_e32 v78, v80, v78
	v_fma_f16 v80, 0x3b76, v69, v156
	v_mul_f16_e64 v142, 0xba62, v141
	v_add_f16_e32 v77, v79, v77
	v_fma_f16 v79, 0x3bf7, v56, v189
	;; [unrolled: 3-line block ×15, first 2 shown]
	v_mul_f16_e64 v146, 0x3a62, v181
	v_add_f16_e32 v79, v81, v79
	v_fmamk_f16 v81, v68, 0xb964, v122
	v_mul_f16_e64 v195, 0x3722, v105
	v_add_f16_e32 v80, v88, v80
	v_fma_f16 v88, 0xb8d2, v69, v146
	v_mul_f16_e64 v162, 0x3964, v141
	v_add_f16_e32 v79, v81, v79
	v_fma_f16 v81, 0x3b29, v56, v195
	v_mul_f16_e64 v185, 0xb8d2, v120
	v_add_f16_e32 v80, v88, v80
	v_fma_f16 v88, 0x39e9, v70, v162
	v_mul_f16_e64 v203, 0xbb29, v169
	v_add_f16_e32 v81, v81, v53
	v_fma_f16 v147, 0x3a62, v54, v185
	v_mul_f16_e64 v196, 0xbbdd, v109
	v_add_f16_e32 v80, v88, v80
	v_fma_f16 v88, 0x3722, v61, v203
	v_mul_f16_e64 v205, 0xba62, v170
	v_add_f16_e64 v81, v147, v81
	v_fma_f16 v147, 0xb1e1, v55, v196
	v_mul_f16_e64 v197, 0xb461, v107
	v_add_f16_e32 v88, v88, v15
	v_fma_f16 v149, 0xb8d2, v62, v205
	v_mul_f16_e64 v206, 0x31e1, v173
	v_add_f16_e64 v81, v147, v81
	v_fma_f16 v147, 0xbbb2, v59, v197
	v_mul_f16_e64 v198, 0x39e9, v108
	v_add_f16_e64 v88, v149, v88
	;; [unrolled: 3-line block ×27, first 2 shown]
	v_fma_f16 v187, 0x35c8, v56, v168
	v_mul_f16_e32 v120, 0x39e9, v120
	v_add_f16_e64 v184, v215, v184
	v_fma_f16 v215, 0x3b76, v70, v171
	v_mul_f16_e64 v186, 0xb5c8, v169
	v_add_f16_e64 v187, v187, v53
	v_fma_f16 v216, 0x3964, v54, v120
	v_mul_f16_e64 v169, 0x3722, v109
	;; [unrolled: 3-line block ×5, first 2 shown]
	v_add_f16_e64 v216, v216, v187
	v_fma_f16 v217, 0x3bf7, v59, v170
	v_mul_f16_e32 v108, 0xb461, v108
	v_add_f16_e64 v107, v215, v107
	v_fma_f16 v215, 0x3722, v63, v173
	v_mul_f16_e64 v187, 0xbbf7, v177
	v_add_f16_e64 v216, v217, v216
	v_fma_f16 v217, 0x3bb2, v57, v108
	v_mul_f16_e32 v110, 0xb8d2, v110
	v_add_f16_e64 v107, v215, v107
	v_fma_f16 v215, 0x2de8, v65, v187
	v_mul_f16_e64 v177, 0xbbb2, v178
	;; [unrolled: 6-line block ×3, first 2 shown]
	v_add_f16_e64 v179, v217, v216
	v_fma_f16 v216, 0x3836, v60, v121
	v_mul_f16_e64 v107, 0xbbdd, v175
	v_add_f16_e64 v215, v218, v215
	v_fma_f16 v217, 0xb8d2, v67, v178
	v_mul_f16_e64 v175, 0xb836, v181
	v_fmac_f16_e32 v89, 0xb1e1, v56
	v_add_f16_e64 v179, v216, v179
	v_fma_f16 v181, 0x31e1, v68, v107
	v_add_f16_e64 v215, v217, v215
	v_fmac_f16_e32 v85, 0x35c8, v54
	v_add_f16_e64 v217, v89, v53
	v_fmac_f16_e32 v83, 0xb836, v55
	v_add_f16_e64 v89, v181, v179
	v_fma_f16 v179, v61, 0xbbdd, -v95
	v_mul_f16_e64 v95, 0xb1e1, v141
	v_add_f16_e64 v85, v85, v217
	v_fma_f16 v99, v62, 0x3b76, -v99
	v_fmac_f16_e32 v116, 0xb836, v56
	v_add_f16_e64 v141, v179, v15
	v_fmac_f16_e32 v82, 0x3964, v59
	v_add_f16_e32 v83, v83, v85
	v_fma_f16 v91, v63, 0xbacd, -v91
	v_fmac_f16_e32 v117, 0x3b29, v54
	v_add_f16_e64 v85, v99, v141
	v_add_f16_e32 v99, v116, v53
	v_add_f16_e32 v82, v82, v83
	v_fmac_f16_e32 v84, 0xba62, v57
	v_fmac_f16_e64 v138, 0xbbf7, v55
	v_add_f16_e32 v83, v91, v85
	v_fma_f16 v85, v65, 0x39e9, -v93
	v_add_f16_e32 v91, v117, v99
	v_add_f16_e32 v82, v84, v82
	v_fmac_f16_e32 v86, 0x3b29, v58
	v_fma_f16 v84, v66, 0xb8d2, -v94
	v_add_f16_e32 v83, v85, v83
	v_add_f16_e64 v85, v138, v91
	v_fmac_f16_e64 v139, 0x3a62, v59
	v_add_f16_e32 v82, v86, v82
	v_fmac_f16_e32 v87, 0xbbb2, v60
	v_add_f16_e32 v83, v84, v83
	v_fma_f16 v84, v67, 0x3722, -v96
	v_add_f16_e64 v85, v139, v85
	v_fmac_f16_e64 v140, 0xb5c8, v57
	v_add_f16_e32 v82, v87, v82
	v_fmac_f16_e32 v124, 0xb1e1, v58
	v_add_f16_e32 v83, v84, v83
	v_fma_f16 v84, v69, 0xb461, -v102
	v_add_f16_e64 v85, v140, v85
	v_fma_f16 v87, v61, 0xbacd, -v111
	v_fmac_f16_e32 v90, 0x3bf7, v68
	v_fmac_f16_e32 v115, 0x3964, v60
	v_add_f16_e32 v83, v84, v83
	v_fma_f16 v84, v70, 0x2de8, -v100
	v_add_f16_e32 v85, v124, v85
	v_add_f16_e32 v87, v87, v15
	v_fma_f16 v91, v62, 0x3722, -v112
	v_fmac_f16_e32 v126, 0xba62, v56
	v_add_f16_e32 v82, v90, v82
	v_add_f16_e32 v83, v84, v83
	;; [unrolled: 1-line block ×4, first 2 shown]
	v_fma_f16 v87, v63, 0x2de8, -v106
	v_add_f16_e32 v90, v126, v53
	v_fmac_f16_e32 v114, 0x3bb2, v54
	v_fma_f16 v91, v61, 0xb8d2, -v144
	v_fmac_f16_e64 v128, 0xb5c8, v55
	v_add_f16_e32 v85, v87, v85
	v_fma_f16 v87, v65, 0xb8d2, -v97
	v_add_f16_e32 v90, v114, v90
	v_add_f16_e32 v91, v91, v15
	v_fma_f16 v93, v62, 0xb461, -v148
	v_fmac_f16_e64 v133, 0xb836, v59
	v_add_f16_e32 v85, v87, v85
	v_fma_f16 v87, v66, 0x3b76, -v98
	v_add_f16_e64 v90, v128, v90
	v_add_f16_e32 v91, v93, v91
	v_fma_f16 v93, v63, 0x3b76, -v151
	v_fmac_f16_e64 v134, 0x3bf7, v57
	v_add_f16_e32 v85, v87, v85
	v_fma_f16 v87, v67, 0xbbdd, -v101
	v_add_f16_e64 v90, v133, v90
	v_add_f16_e32 v91, v93, v91
	v_fma_f16 v93, v65, 0xbacd, -v159
	v_fmac_f16_e32 v92, 0xbbb2, v68
	v_add_f16_e32 v85, v87, v85
	v_fma_f16 v87, v69, 0x39e9, -v103
	v_add_f16_e64 v90, v134, v90
	v_fmac_f16_e64 v136, 0xb964, v58
	v_add_f16_e32 v91, v93, v91
	v_fma_f16 v93, v66, 0x2de8, -v160
	v_add_f16_e32 v84, v92, v84
	v_add_f16_e32 v85, v87, v85
	v_add_f16_e64 v87, v136, v90
	v_fma_f16 v92, v70, 0xb461, -v104
	v_add_f16_e32 v90, v93, v91
	v_fma_f16 v91, v67, 0x39e9, -v161
	v_fmac_f16_e64 v166, 0xbbb2, v56
	v_fmac_f16_e32 v123, 0x3836, v54
	v_add_f16_e32 v85, v92, v85
	v_fma_f16 v92, v61, 0xb461, -v172
	v_add_f16_e32 v90, v91, v90
	v_fma_f16 v91, v69, 0xbbdd, -v145
	v_add_f16_e64 v93, v166, v53
	v_fmac_f16_e64 v189, 0xbbf7, v56
	v_add_f16_e32 v92, v92, v15
	v_fmac_f16_e64 v190, 0xb1e1, v54
	v_add_f16_e32 v90, v91, v90
	v_add_f16_e32 v91, v123, v93
	v_fma_f16 v93, v62, 0xbacd, -v174
	v_add_f16_e64 v96, v189, v53
	v_fmac_f16_e64 v200, 0x3bb2, v55
	v_fmac_f16_e64 v201, 0x35c8, v59
	v_fma_f16 v94, v70, 0x3722, -v119
	v_add_f16_e32 v92, v93, v92
	v_fma_f16 v93, v63, 0x39e9, -v152
	v_add_f16_e64 v96, v190, v96
	v_fmac_f16_e64 v202, 0xbb29, v57
	v_add_f16_e32 v90, v94, v90
	v_fmac_f16_e64 v193, 0xb836, v58
	v_add_f16_e32 v92, v93, v92
	v_fma_f16 v93, v65, 0x3722, -v153
	v_add_f16_e64 v96, v200, v96
	v_fmac_f16_e64 v188, 0x3a62, v60
	v_fma_f16 v97, v62, 0xbbdd, -v183
	v_fmac_f16_e64 v195, 0xbb29, v56
	v_add_f16_e32 v92, v93, v92
	v_fma_f16 v93, v66, 0xbbdd, -v154
	v_add_f16_e64 v96, v201, v96
	v_fmac_f16_e64 v185, 0xba62, v54
	v_fma_f16 v98, v61, 0x3722, -v203
	v_fmac_f16_e64 v196, 0x31e1, v55
	v_add_f16_e32 v92, v93, v92
	v_fma_f16 v93, v67, 0x2de8, -v155
	v_add_f16_e64 v94, v202, v96
	v_fma_f16 v96, v61, 0x2de8, -v182
	v_add_f16_e32 v98, v98, v15
	v_fma_f16 v99, v62, 0xb8d2, -v205
	v_add_f16_e32 v92, v93, v92
	v_fma_f16 v93, v69, 0x3b76, -v156
	v_add_f16_e64 v94, v193, v94
	v_add_f16_e32 v96, v96, v15
	v_fmac_f16_e64 v197, 0x3bb2, v59
	v_add_f16_e32 v98, v99, v98
	v_add_f16_e32 v92, v93, v92
	v_fma_f16 v93, v70, 0xb8d2, -v142
	v_fma_f16 v99, v63, 0xbbdd, -v206
	v_fmac_f16_e64 v198, 0x3964, v57
	v_fmac_f16_e64 v199, 0xb5c8, v58
	;; [unrolled: 1-line block ×3, first 2 shown]
	v_add_f16_e32 v92, v93, v92
	v_add_f16_e64 v93, v188, v94
	v_add_f16_e32 v94, v97, v96
	v_fma_f16 v96, v63, 0xb461, -v176
	v_add_f16_e64 v97, v195, v53
	v_add_f16_e32 v98, v99, v98
	v_fma_f16 v99, v65, 0xb461, -v207
	v_fmac_f16_e64 v210, 0xb964, v56
	v_add_f16_e32 v94, v96, v94
	v_fma_f16 v96, v65, 0x3b76, -v135
	v_add_f16_e64 v97, v185, v97
	v_add_f16_e32 v98, v99, v98
	v_fma_f16 v99, v66, 0x39e9, -v208
	v_fmac_f16_e64 v192, 0xbbf7, v54
	v_add_f16_e32 v94, v96, v94
	v_fma_f16 v96, v66, 0x3722, -v137
	v_add_f16_e64 v97, v196, v97
	v_add_f16_e32 v98, v99, v98
	v_fma_f16 v99, v67, 0x3b76, -v209
	v_fma_f16 v100, v61, 0x39e9, -v212
	v_add_f16_e32 v94, v96, v94
	v_fma_f16 v96, v67, 0xbacd, -v143
	v_add_f16_e64 v97, v197, v97
	v_fmac_f16_e64 v211, 0xba62, v55
	v_add_f16_e32 v100, v100, v15
	v_fma_f16 v101, v62, 0x2de8, -v213
	v_add_f16_e32 v94, v96, v94
	v_fma_f16 v96, v69, 0xb8d2, -v146
	v_add_f16_e64 v97, v198, v97
	v_add_f16_e32 v52, v52, v53
	v_add_f16_e32 v16, v16, v15
	v_fmac_f16_e64 v168, 0xb5c8, v56
	v_add_f16_e32 v94, v96, v94
	v_fma_f16 v96, v70, 0x39e9, -v162
	v_add_f16_e64 v97, v199, v97
	v_add_f16_e32 v51, v51, v52
	v_add_f16_e32 v16, v17, v16
	v_fma_f16 v17, v65, 0xbbdd, -v163
	v_add_f16_e32 v94, v96, v94
	v_add_f16_e64 v96, v194, v97
	v_add_f16_e32 v97, v99, v98
	v_fma_f16 v98, v69, 0x2de8, -v204
	v_add_f16_e64 v99, v210, v53
	v_add_f16_e32 v50, v50, v51
	v_add_f16_e32 v16, v18, v16
	v_fma_f16 v18, v66, 0xbacd, -v164
	v_add_f16_e32 v97, v98, v97
	v_fma_f16 v98, v70, 0xbacd, -v191
	v_add_f16_e64 v99, v192, v99
	v_add_f16_e32 v49, v49, v50
	v_add_f16_e32 v16, v19, v16
	v_fmac_f16_e32 v120, 0xb964, v54
	v_add_f16_e32 v97, v98, v97
	v_add_f16_e64 v98, v211, v99
	v_add_f16_e32 v99, v101, v100
	v_fma_f16 v100, v63, 0xb8d2, -v214
	v_add_f16_e32 v19, v48, v49
	v_add_f16_e32 v16, v20, v16
	v_fmac_f16_e64 v169, 0xbb29, v55
	v_fmac_f16_e64 v129, 0x3964, v55
	v_add_f16_e32 v99, v100, v99
	v_fmac_f16_e64 v170, 0xbbf7, v59
	v_add_f16_e32 v11, v11, v16
	v_fma_f16 v16, v69, 0x3722, -v165
	v_add_f16_e64 v91, v129, v91
	v_add_f16_e32 v17, v17, v99
	v_fmac_f16_e64 v130, 0xbb29, v59
	v_add_f16_e32 v11, v12, v11
	v_fmac_f16_e64 v147, 0xb1e1, v59
	v_fmac_f16_e32 v108, 0xbbb2, v57
	v_add_f16_e32 v17, v18, v17
	v_fma_f16 v18, v67, 0xb461, -v167
	v_add_f16_e32 v11, v72, v11
	v_add_f16_e64 v91, v130, v91
	v_fmac_f16_e64 v131, 0xb1e1, v57
	v_add_f16_e64 v98, v147, v98
	v_add_f16_e32 v17, v18, v17
	v_add_f16_e32 v18, v47, v19
	;; [unrolled: 1-line block ×3, first 2 shown]
	v_fmac_f16_e64 v149, 0x3836, v57
	v_fmac_f16_e32 v110, 0xba62, v58
	v_add_f16_e32 v12, v16, v17
	v_add_f16_e32 v18, v37, v18
	v_fma_f16 v16, v70, 0x3b76, -v171
	v_add_f16_e32 v7, v7, v11
	v_add_f16_e64 v17, v168, v53
	v_fma_f16 v11, v62, 0x39e9, -v184
	v_add_f16_e32 v18, v39, v18
	v_add_f16_e32 v12, v16, v12
	v_fma_f16 v16, v61, 0x3b76, -v186
	v_add_f16_e32 v7, v8, v7
	v_add_f16_e32 v17, v120, v17
	v_add_f16_e32 v18, v38, v18
	v_fma_f16 v216, 0xbacd, v69, v175
	v_add_f16_e32 v15, v16, v15
	v_add_f16_e32 v7, v9, v7
	v_add_f16_e64 v17, v169, v17
	v_add_f16_e32 v16, v36, v18
	v_fma_f16 v9, v65, 0x2de8, -v187
	v_add_f16_e32 v8, v11, v15
	v_fma_f16 v11, v63, 0x3722, -v173
	v_add_f16_e32 v7, v10, v7
	v_add_f16_e32 v16, v34, v16
	v_add_f16_e64 v15, v170, v17
	v_add_f16_e64 v91, v131, v91
	v_add_f16_e32 v8, v11, v8
	v_add_f16_e32 v5, v5, v7
	;; [unrolled: 1-line block ×3, first 2 shown]
	v_fma_f16 v7, v66, 0xb461, -v177
	v_add_f16_e32 v10, v108, v15
	v_add_f16_e32 v8, v9, v8
	;; [unrolled: 1-line block ×4, first 2 shown]
	v_fmac_f16_e64 v132, 0x3bf7, v58
	v_add_f16_e64 v52, v149, v98
	v_fmac_f16_e64 v157, 0x3bb2, v58
	v_add_f16_e32 v6, v7, v8
	v_add_f16_e32 v9, v31, v11
	v_fma_f16 v7, v67, 0xb8d2, -v178
	v_add_f16_e32 v10, v110, v10
	v_fmac_f16_e32 v121, 0xb836, v60
	v_add_f16_e32 v5, v28, v5
	v_add_f16_e32 v9, v30, v9
	v_add_f16_e64 v181, v216, v215
	v_fma_f16 v179, 0xbbdd, v70, v95
	v_fmac_f16_e32 v125, 0xb1e1, v60
	v_add_f16_e64 v91, v132, v91
	v_add_f16_e32 v9, v35, v9
	v_fmac_f16_e32 v127, 0xb5c8, v60
	v_add_f16_e64 v51, v157, v52
	v_fmac_f16_e64 v150, 0x3b29, v60
	v_add_f16_e32 v6, v7, v6
	v_fma_f16 v7, v69, 0xbacd, -v175
	v_add_f16_e32 v8, v121, v10
	v_lshlrev_b32_e32 v9, 16, v9
	v_and_b32_e32 v5, 0xffff, v5
	v_and_b32_e32 v10, 0xffff, v29
	v_add_f16_e64 v86, v179, v181
	v_add_f16_e32 v87, v125, v87
	v_fmac_f16_e32 v113, 0x3b29, v68
	v_add_f16_e32 v91, v127, v91
	v_fmac_f16_e32 v118, 0xba62, v68
	v_fmac_f16_e32 v122, 0x3964, v68
	v_fmac_f16_e64 v180, 0xb836, v68
	v_add_f16_e64 v20, v150, v51
	v_fmac_f16_e64 v158, 0x35c8, v68
	v_fmac_f16_e32 v107, 0xb1e1, v68
	v_add_f16_e32 v6, v7, v6
	v_fma_f16 v7, v70, 0xbbdd, -v95
	v_or_b32_e32 v5, v9, v5
	v_lshl_add_u32 v9, v10, 2, v27
	v_pack_b32_f16 v10, v109, v105
	v_pack_b32_f16 v11, v86, v89
	v_add_f16_e32 v87, v113, v87
	v_add_f16_e32 v91, v118, v91
	v_pack_b32_f16 v15, v80, v79
	v_pack_b32_f16 v16, v88, v81
	v_add_f16_e32 v93, v122, v93
	v_add_f16_e64 v96, v180, v96
	v_pack_b32_f16 v17, v76, v75
	v_pack_b32_f16 v18, v78, v77
	v_add_f16_e64 v19, v158, v20
	v_add_f16_e32 v8, v107, v8
	v_add_f16_e32 v6, v7, v6
	ds_store_b32 v9, v5
	ds_store_2addr_b32 v9, v11, v10 offset0:1 offset1:2
	ds_store_2addr_b32 v9, v16, v15 offset0:3 offset1:4
	;; [unrolled: 1-line block ×3, first 2 shown]
	v_pack_b32_f16 v5, v71, v64
	v_pack_b32_f16 v7, v74, v73
	;; [unrolled: 1-line block ×10, first 2 shown]
	ds_store_2addr_b32 v9, v7, v5 offset0:7 offset1:8
	ds_store_2addr_b32 v9, v11, v10 offset0:9 offset1:10
	;; [unrolled: 1-line block ×5, first 2 shown]
.LBB0_13:
	s_wait_alu 0xfffe
	s_or_b32 exec_lo, exec_lo, s0
	global_wb scope:SCOPE_SE
	s_wait_dscnt 0x0
	s_barrier_signal -1
	s_barrier_wait -1
	global_inv scope:SCOPE_SE
	ds_load_2addr_b32 v[5:6], v22 offset1:17
	ds_load_2addr_b32 v[7:8], v22 offset0:34 offset1:51
	ds_load_2addr_b32 v[9:10], v22 offset0:68 offset1:85
	ds_load_b32 v11, v22 offset:408
	s_wait_dscnt 0x3
	v_lshrrev_b32_e32 v12, 16, v6
	s_wait_dscnt 0x2
	v_lshrrev_b32_e32 v15, 16, v7
	v_mul_f16_e32 v20, v46, v6
	v_lshrrev_b32_e32 v16, 16, v8
	s_wait_dscnt 0x1
	v_lshrrev_b32_e32 v18, 16, v10
	s_wait_dscnt 0x0
	v_lshrrev_b32_e32 v19, 16, v11
	v_mul_f16_e32 v22, v45, v7
	v_mul_f16_e32 v30, v46, v12
	v_fma_f16 v12, v0, v12, -v20
	v_mul_f16_e32 v20, v45, v15
	v_lshrrev_b32_e32 v17, 16, v9
	v_mul_f16_e32 v27, v43, v8
	v_mul_f16_e32 v29, v44, v11
	v_fma_f16 v15, v1, v15, -v22
	v_mul_f16_e32 v22, v43, v16
	v_mul_f16_e32 v31, v44, v19
	v_fmac_f16_e32 v30, v0, v6
	v_fmac_f16_e32 v20, v1, v7
	v_mul_f16_e32 v0, v41, v18
	v_mul_f16_e32 v1, v41, v10
	;; [unrolled: 1-line block ×3, first 2 shown]
	v_fma_f16 v16, v2, v16, -v27
	v_mul_f16_e32 v27, v42, v17
	v_fmac_f16_e32 v22, v2, v8
	v_fmac_f16_e32 v31, v14, v11
	v_fma_f16 v2, v14, v19, -v29
	v_fmac_f16_e32 v0, v13, v10
	v_fma_f16 v1, v13, v18, -v1
	;; [unrolled: 2-line block ×3, first 2 shown]
	v_add_f16_e32 v6, v30, v31
	v_add_f16_e32 v7, v12, v2
	;; [unrolled: 1-line block ×4, first 2 shown]
	v_sub_f16_e32 v2, v12, v2
	v_sub_f16_e32 v1, v15, v1
	v_add_f16_e32 v11, v22, v27
	v_add_f16_e32 v12, v16, v3
	;; [unrolled: 1-line block ×4, first 2 shown]
	v_sub_f16_e32 v3, v3, v16
	v_sub_f16_e32 v16, v9, v6
	;; [unrolled: 1-line block ×7, first 2 shown]
	v_add_f16_e32 v12, v12, v15
	v_lshrrev_b32_e32 v15, 16, v5
	v_add_f16_e32 v11, v11, v14
	v_sub_f16_e32 v0, v20, v0
	v_sub_f16_e32 v13, v27, v22
	;; [unrolled: 1-line block ×3, first 2 shown]
	v_add_f16_e32 v15, v12, v15
	v_add_f16_e32 v5, v11, v5
	;; [unrolled: 1-line block ×4, first 2 shown]
	v_sub_f16_e32 v19, v13, v0
	v_sub_f16_e32 v20, v3, v1
	v_lshlrev_b32_e32 v22, 16, v15
	v_and_b32_e32 v27, 0xffff, v5
	v_sub_f16_e32 v0, v0, v8
	v_sub_f16_e32 v1, v1, v2
	v_sub_f16_e32 v13, v8, v13
	v_sub_f16_e32 v3, v2, v3
	v_add_f16_e32 v8, v14, v8
	v_add_f16_e32 v2, v18, v2
	v_or_b32_e32 v14, v22, v27
	v_mul_f16_e32 v6, 0x3a52, v6
	v_mul_f16_e32 v7, 0x3a52, v7
	;; [unrolled: 1-line block ×8, first 2 shown]
	v_fmac_f16_e32 v5, 0xbcab, v11
	v_fmac_f16_e32 v15, 0xbcab, v12
	v_fmamk_f16 v9, v9, 0x2b26, v6
	v_fmamk_f16 v10, v10, 0x2b26, v7
	v_fma_f16 v11, v16, 0x39e0, -v18
	v_fma_f16 v12, v17, 0x39e0, -v22
	;; [unrolled: 1-line block ×4, first 2 shown]
	v_fmamk_f16 v16, v13, 0xb574, v19
	v_fmamk_f16 v17, v3, 0xb574, v20
	v_fma_f16 v0, v0, 0xbb00, -v19
	v_fma_f16 v1, v1, 0xbb00, -v20
	;; [unrolled: 1-line block ×4, first 2 shown]
	v_add_f16_e32 v9, v9, v5
	v_add_f16_e32 v10, v10, v15
	v_fmac_f16_e32 v16, 0xb70e, v8
	v_fmac_f16_e32 v17, 0xb70e, v2
	v_add_f16_e32 v11, v11, v5
	v_add_f16_e32 v12, v12, v15
	;; [unrolled: 1-line block ×4, first 2 shown]
	v_fmac_f16_e32 v0, 0xb70e, v8
	v_fmac_f16_e32 v3, 0xb70e, v2
	;; [unrolled: 1-line block ×4, first 2 shown]
	v_add_f16_e32 v2, v17, v9
	v_sub_f16_e32 v7, v10, v16
	v_add_f16_e32 v8, v3, v5
	v_sub_f16_e32 v15, v6, v13
	v_sub_f16_e32 v18, v11, v1
	v_add_f16_e32 v19, v0, v12
	v_add_f16_e32 v1, v1, v11
	v_sub_f16_e32 v0, v12, v0
	v_sub_f16_e32 v3, v5, v3
	v_add_f16_e32 v5, v13, v6
	v_sub_f16_e32 v6, v9, v17
	v_add_f16_e32 v9, v16, v10
	v_pack_b32_f16 v2, v2, v7
	v_pack_b32_f16 v7, v8, v15
	v_pack_b32_f16 v8, v18, v19
	v_pack_b32_f16 v0, v1, v0
	v_pack_b32_f16 v1, v3, v5
	v_pack_b32_f16 v3, v6, v9
	ds_store_2addr_b32 v21, v14, v2 offset1:17
	ds_store_2addr_b32 v21, v7, v8 offset0:34 offset1:51
	ds_store_2addr_b32 v21, v0, v1 offset0:68 offset1:85
	ds_store_b32 v21, v3 offset:408
	global_wb scope:SCOPE_SE
	s_wait_dscnt 0x0
	s_barrier_signal -1
	s_barrier_wait -1
	global_inv scope:SCOPE_SE
	s_and_b32 exec_lo, exec_lo, vcc_lo
	s_cbranch_execz .LBB0_15
; %bb.14:
	global_load_b32 v0, v24, s[12:13]
	ds_load_b32 v1, v21
	s_mov_b32 s8, 0x1135c811
	s_mov_b32 s9, 0x3f8135c8
	v_mad_co_u64_u32 v[7:8], null, s4, v26, 0
	s_wait_dscnt 0x0
	v_lshrrev_b32_e32 v2, 16, v1
	s_wait_loadcnt 0x0
	v_lshrrev_b32_e32 v3, 16, v0
	s_delay_alu instid0(VALU_DEP_1) | instskip(SKIP_1) | instid1(VALU_DEP_2)
	v_mul_f16_e32 v5, v2, v3
	v_mul_f16_e32 v3, v1, v3
	v_fmac_f16_e32 v5, v1, v0
	s_delay_alu instid0(VALU_DEP_2) | instskip(NEXT) | instid1(VALU_DEP_2)
	v_fma_f16 v0, v0, v2, -v3
	v_cvt_f32_f16_e32 v1, v5
	s_delay_alu instid0(VALU_DEP_2) | instskip(SKIP_1) | instid1(VALU_DEP_3)
	v_cvt_f32_f16_e32 v2, v0
	v_mad_co_u64_u32 v[5:6], null, s6, v4, 0
	v_cvt_f64_f32_e32 v[0:1], v1
	s_delay_alu instid0(VALU_DEP_3) | instskip(SKIP_1) | instid1(VALU_DEP_2)
	v_cvt_f64_f32_e32 v[2:3], v2
	s_wait_alu 0xfffe
	v_mul_f64_e32 v[0:1], s[8:9], v[0:1]
	s_delay_alu instid0(VALU_DEP_2) | instskip(NEXT) | instid1(VALU_DEP_2)
	v_mul_f64_e32 v[2:3], s[8:9], v[2:3]
	v_and_or_b32 v0, 0x1ff, v1, v0
	s_delay_alu instid0(VALU_DEP_2)
	v_and_or_b32 v2, 0x1ff, v3, v2
	v_lshrrev_b32_e32 v9, 8, v1
	v_bfe_u32 v11, v1, 20, 11
	v_bfe_u32 v12, v3, 20, 11
	v_cmp_ne_u32_e32 vcc_lo, 0, v0
	v_lshrrev_b32_e32 v10, 8, v3
	v_mov_b32_e32 v0, v8
	v_sub_nc_u32_e32 v14, 0x3f1, v11
	v_sub_nc_u32_e32 v15, 0x3f1, v12
	v_cndmask_b32_e64 v13, 0, 1, vcc_lo
	v_cmp_ne_u32_e32 vcc_lo, 0, v2
	v_add_nc_u32_e32 v12, 0xfffffc10, v12
	v_lshrrev_b32_e32 v3, 16, v3
	v_add_nc_u32_e32 v11, 0xfffffc10, v11
	v_and_or_b32 v13, 0xffe, v9, v13
	s_wait_alu 0xfffd
	v_cndmask_b32_e64 v2, 0, 1, vcc_lo
	v_mad_co_u64_u32 v[8:9], null, s7, v4, v[6:7]
	v_med3_i32 v4, v14, 0, 13
	v_med3_i32 v14, v15, 0, 13
	s_delay_alu instid0(VALU_DEP_4) | instskip(SKIP_3) | instid1(VALU_DEP_4)
	v_and_or_b32 v2, 0xffe, v10, v2
	v_or_b32_e32 v15, 0x1000, v13
	v_mad_co_u64_u32 v[9:10], null, s5, v26, v[0:1]
	v_mov_b32_e32 v6, v8
	v_or_b32_e32 v16, 0x1000, v2
	s_delay_alu instid0(VALU_DEP_4) | instskip(SKIP_2) | instid1(VALU_DEP_3)
	v_lshrrev_b32_e32 v0, v4, v15
	v_lshrrev_b32_e32 v1, 16, v1
	s_mul_u64 s[6:7], s[4:5], 28
	v_lshrrev_b32_e32 v10, v14, v16
	s_delay_alu instid0(VALU_DEP_3) | instskip(NEXT) | instid1(VALU_DEP_2)
	v_lshlrev_b32_e32 v4, v4, v0
	v_dual_mov_b32 v8, v9 :: v_dual_lshlrev_b32 v9, v14, v10
	s_delay_alu instid0(VALU_DEP_2)
	v_cmp_ne_u32_e32 vcc_lo, v4, v15
	v_lshlrev_b64_e32 v[4:5], 2, v[5:6]
	v_lshl_or_b32 v6, v11, 12, v13
	s_wait_alu 0xfffd
	v_cndmask_b32_e64 v14, 0, 1, vcc_lo
	v_cmp_ne_u32_e32 vcc_lo, v9, v16
	s_delay_alu instid0(VALU_DEP_2) | instskip(SKIP_4) | instid1(VALU_DEP_3)
	v_or_b32_e32 v0, v0, v14
	s_wait_alu 0xfffd
	v_cndmask_b32_e64 v9, 0, 1, vcc_lo
	v_cmp_gt_i32_e32 vcc_lo, 1, v11
	v_lshl_or_b32 v14, v12, 12, v2
	v_or_b32_e32 v9, v10, v9
	s_wait_alu 0xfffd
	v_cndmask_b32_e32 v0, v6, v0, vcc_lo
	v_cmp_gt_i32_e32 vcc_lo, 1, v12
	s_delay_alu instid0(VALU_DEP_2)
	v_and_b32_e32 v10, 7, v0
	s_wait_alu 0xfffd
	v_cndmask_b32_e32 v6, v14, v9, vcc_lo
	v_cmp_ne_u32_e32 vcc_lo, 0, v13
	v_lshrrev_b32_e32 v0, 2, v0
	v_cmp_eq_u32_e64 s0, 3, v10
	s_delay_alu instid0(VALU_DEP_4)
	v_and_b32_e32 v13, 7, v6
	s_wait_alu 0xfffd
	v_cndmask_b32_e64 v9, 0, 1, vcc_lo
	v_cmp_ne_u32_e32 vcc_lo, 0, v2
	v_lshrrev_b32_e32 v6, 2, v6
	v_cmp_lt_i32_e64 s1, 5, v13
	v_cmp_eq_u32_e64 s2, 3, v13
	s_wait_alu 0xfffd
	v_cndmask_b32_e64 v2, 0, 1, vcc_lo
	v_cmp_lt_i32_e32 vcc_lo, 5, v10
	v_lshl_or_b32 v9, v9, 9, 0x7c00
	s_delay_alu instid0(VALU_DEP_3)
	v_lshl_or_b32 v2, v2, 9, 0x7c00
	s_or_b32 vcc_lo, s0, vcc_lo
	s_wait_alu 0xfffe
	v_add_co_ci_u32_e32 v0, vcc_lo, 0, v0, vcc_lo
	s_or_b32 vcc_lo, s2, s1
	s_wait_alu 0xfffe
	v_add_co_ci_u32_e32 v6, vcc_lo, 0, v6, vcc_lo
	v_cmp_gt_i32_e32 vcc_lo, 31, v11
	s_wait_alu 0xfffd
	v_cndmask_b32_e32 v0, 0x7c00, v0, vcc_lo
	v_cmp_gt_i32_e32 vcc_lo, 31, v12
	s_wait_alu 0xfffd
	v_cndmask_b32_e32 v10, 0x7c00, v6, vcc_lo
	v_cmp_eq_u32_e32 vcc_lo, 0x40f, v11
	v_lshlrev_b64_e32 v[6:7], 2, v[7:8]
	s_wait_alu 0xfffd
	v_cndmask_b32_e32 v0, v0, v9, vcc_lo
	v_cmp_eq_u32_e32 vcc_lo, 0x40f, v12
	s_delay_alu instid0(VALU_DEP_2)
	v_and_or_b32 v8, 0x8000, v1, v0
	s_wait_alu 0xfffd
	v_cndmask_b32_e32 v2, v10, v2, vcc_lo
	v_add_co_u32 v0, vcc_lo, s14, v4
	s_wait_alu 0xfffd
	v_add_co_ci_u32_e32 v1, vcc_lo, s15, v5, vcc_lo
	s_delay_alu instid0(VALU_DEP_3) | instskip(SKIP_4) | instid1(VALU_DEP_3)
	v_and_or_b32 v4, 0x8000, v3, v2
	v_and_b32_e32 v5, 0xffff, v8
	v_add_co_u32 v2, vcc_lo, v0, v6
	s_wait_alu 0xfffd
	v_add_co_ci_u32_e32 v3, vcc_lo, v1, v7, vcc_lo
	v_lshl_or_b32 v4, v4, 16, v5
	global_store_b32 v[2:3], v4, off
	global_load_b32 v6, v24, s[12:13] offset:28
	ds_load_2addr_b32 v[4:5], v21 offset0:7 offset1:14
	s_wait_dscnt 0x0
	v_lshrrev_b32_e32 v7, 16, v4
	s_wait_loadcnt 0x0
	v_lshrrev_b32_e32 v8, 16, v6
	s_delay_alu instid0(VALU_DEP_1) | instskip(SKIP_1) | instid1(VALU_DEP_2)
	v_mul_f16_e32 v9, v7, v8
	v_mul_f16_e32 v8, v4, v8
	v_fmac_f16_e32 v9, v4, v6
	s_delay_alu instid0(VALU_DEP_2) | instskip(NEXT) | instid1(VALU_DEP_2)
	v_fma_f16 v4, v6, v7, -v8
	v_cvt_f32_f16_e32 v6, v9
	s_delay_alu instid0(VALU_DEP_2) | instskip(NEXT) | instid1(VALU_DEP_2)
	v_cvt_f32_f16_e32 v4, v4
	v_cvt_f64_f32_e32 v[6:7], v6
	s_delay_alu instid0(VALU_DEP_2) | instskip(NEXT) | instid1(VALU_DEP_2)
	v_cvt_f64_f32_e32 v[8:9], v4
	v_mul_f64_e32 v[6:7], s[8:9], v[6:7]
	s_delay_alu instid0(VALU_DEP_2) | instskip(NEXT) | instid1(VALU_DEP_2)
	v_mul_f64_e32 v[8:9], s[8:9], v[8:9]
	v_and_or_b32 v4, 0x1ff, v7, v6
	s_delay_alu instid0(VALU_DEP_2)
	v_and_or_b32 v8, 0x1ff, v9, v8
	v_lshrrev_b32_e32 v6, 8, v7
	v_bfe_u32 v10, v7, 20, 11
	v_lshrrev_b32_e32 v11, 8, v9
	v_cmp_ne_u32_e32 vcc_lo, 0, v4
	v_bfe_u32 v12, v9, 20, 11
	v_lshrrev_b32_e32 v7, 16, v7
	v_sub_nc_u32_e32 v13, 0x3f1, v10
	v_add_nc_u32_e32 v10, 0xfffffc10, v10
	s_wait_alu 0xfffd
	v_cndmask_b32_e64 v4, 0, 1, vcc_lo
	v_cmp_ne_u32_e32 vcc_lo, 0, v8
	v_lshrrev_b32_e32 v9, 16, v9
	s_delay_alu instid0(VALU_DEP_3) | instskip(SKIP_4) | instid1(VALU_DEP_3)
	v_and_or_b32 v4, 0xffe, v6, v4
	s_wait_alu 0xfffd
	v_cndmask_b32_e64 v8, 0, 1, vcc_lo
	v_sub_nc_u32_e32 v6, 0x3f1, v12
	v_add_nc_u32_e32 v12, 0xfffffc10, v12
	v_and_or_b32 v8, 0xffe, v11, v8
	v_med3_i32 v11, v13, 0, 13
	v_or_b32_e32 v13, 0x1000, v4
	v_med3_i32 v6, v6, 0, 13
	s_delay_alu instid0(VALU_DEP_4) | instskip(NEXT) | instid1(VALU_DEP_3)
	v_or_b32_e32 v14, 0x1000, v8
	v_lshrrev_b32_e32 v15, v11, v13
	s_delay_alu instid0(VALU_DEP_2) | instskip(NEXT) | instid1(VALU_DEP_2)
	v_lshrrev_b32_e32 v16, v6, v14
	v_lshlrev_b32_e32 v11, v11, v15
	s_delay_alu instid0(VALU_DEP_2) | instskip(NEXT) | instid1(VALU_DEP_2)
	v_lshlrev_b32_e32 v6, v6, v16
	v_cmp_ne_u32_e32 vcc_lo, v11, v13
	v_lshl_or_b32 v13, v10, 12, v4
	s_wait_alu 0xfffd
	v_cndmask_b32_e64 v11, 0, 1, vcc_lo
	v_cmp_ne_u32_e32 vcc_lo, v6, v14
	v_lshl_or_b32 v14, v12, 12, v8
	s_delay_alu instid0(VALU_DEP_3) | instskip(SKIP_3) | instid1(VALU_DEP_2)
	v_or_b32_e32 v11, v15, v11
	s_wait_alu 0xfffd
	v_cndmask_b32_e64 v6, 0, 1, vcc_lo
	v_cmp_gt_i32_e32 vcc_lo, 1, v10
	v_or_b32_e32 v6, v16, v6
	s_wait_alu 0xfffd
	v_cndmask_b32_e32 v11, v13, v11, vcc_lo
	v_cmp_gt_i32_e32 vcc_lo, 1, v12
	s_wait_alu 0xfffd
	s_delay_alu instid0(VALU_DEP_2) | instskip(SKIP_2) | instid1(VALU_DEP_3)
	v_dual_cndmask_b32 v6, v14, v6 :: v_dual_and_b32 v13, 7, v11
	v_cmp_ne_u32_e32 vcc_lo, 0, v4
	v_lshrrev_b32_e32 v11, 2, v11
	v_cmp_eq_u32_e64 s0, 3, v13
	s_delay_alu instid0(VALU_DEP_4)
	v_and_b32_e32 v14, 7, v6
	s_wait_alu 0xfffd
	v_cndmask_b32_e64 v4, 0, 1, vcc_lo
	v_cmp_ne_u32_e32 vcc_lo, 0, v8
	v_lshrrev_b32_e32 v6, 2, v6
	v_cmp_lt_i32_e64 s1, 5, v14
	v_cmp_eq_u32_e64 s2, 3, v14
	s_wait_alu 0xfffd
	v_cndmask_b32_e64 v8, 0, 1, vcc_lo
	v_cmp_lt_i32_e32 vcc_lo, 5, v13
	v_lshl_or_b32 v4, v4, 9, 0x7c00
	s_delay_alu instid0(VALU_DEP_3)
	v_lshl_or_b32 v8, v8, 9, 0x7c00
	s_or_b32 vcc_lo, s0, vcc_lo
	s_wait_alu 0xfffe
	v_add_co_ci_u32_e32 v11, vcc_lo, 0, v11, vcc_lo
	s_or_b32 vcc_lo, s2, s1
	s_wait_alu 0xfffe
	v_add_co_ci_u32_e32 v6, vcc_lo, 0, v6, vcc_lo
	v_cmp_gt_i32_e32 vcc_lo, 31, v10
	s_wait_alu 0xfffd
	v_cndmask_b32_e32 v11, 0x7c00, v11, vcc_lo
	v_cmp_gt_i32_e32 vcc_lo, 31, v12
	s_wait_alu 0xfffd
	v_cndmask_b32_e32 v6, 0x7c00, v6, vcc_lo
	v_cmp_eq_u32_e32 vcc_lo, 0x40f, v10
	s_wait_alu 0xfffd
	v_cndmask_b32_e32 v4, v11, v4, vcc_lo
	v_cmp_eq_u32_e32 vcc_lo, 0x40f, v12
	s_delay_alu instid0(VALU_DEP_2)
	v_and_or_b32 v4, 0x8000, v7, v4
	s_wait_alu 0xfffd
	v_cndmask_b32_e32 v6, v6, v8, vcc_lo
	v_add_co_u32 v2, vcc_lo, v2, s6
	s_wait_alu 0xfffd
	v_add_co_ci_u32_e32 v3, vcc_lo, s7, v3, vcc_lo
	s_delay_alu instid0(VALU_DEP_3) | instskip(SKIP_1) | instid1(VALU_DEP_1)
	v_and_or_b32 v6, 0x8000, v9, v6
	v_and_b32_e32 v4, 0xffff, v4
	v_lshl_or_b32 v4, v6, 16, v4
	v_lshrrev_b32_e32 v6, 16, v5
	global_store_b32 v[2:3], v4, off
	global_load_b32 v4, v24, s[12:13] offset:56
	s_wait_loadcnt 0x0
	v_lshrrev_b32_e32 v7, 16, v4
	s_delay_alu instid0(VALU_DEP_1) | instskip(SKIP_1) | instid1(VALU_DEP_2)
	v_mul_f16_e32 v8, v6, v7
	v_mul_f16_e32 v7, v5, v7
	v_fmac_f16_e32 v8, v5, v4
	s_delay_alu instid0(VALU_DEP_2) | instskip(NEXT) | instid1(VALU_DEP_2)
	v_fma_f16 v4, v4, v6, -v7
	v_cvt_f32_f16_e32 v5, v8
	s_delay_alu instid0(VALU_DEP_2) | instskip(NEXT) | instid1(VALU_DEP_2)
	v_cvt_f32_f16_e32 v6, v4
	v_cvt_f64_f32_e32 v[4:5], v5
	s_delay_alu instid0(VALU_DEP_2) | instskip(NEXT) | instid1(VALU_DEP_2)
	v_cvt_f64_f32_e32 v[6:7], v6
	v_mul_f64_e32 v[4:5], s[8:9], v[4:5]
	s_delay_alu instid0(VALU_DEP_2) | instskip(NEXT) | instid1(VALU_DEP_2)
	v_mul_f64_e32 v[6:7], s[8:9], v[6:7]
	v_and_or_b32 v4, 0x1ff, v5, v4
	s_delay_alu instid0(VALU_DEP_2)
	v_and_or_b32 v6, 0x1ff, v7, v6
	v_lshrrev_b32_e32 v8, 8, v5
	v_bfe_u32 v9, v5, 20, 11
	v_lshrrev_b32_e32 v10, 8, v7
	v_cmp_ne_u32_e32 vcc_lo, 0, v4
	v_bfe_u32 v11, v7, 20, 11
	v_lshrrev_b32_e32 v5, 16, v5
	v_sub_nc_u32_e32 v12, 0x3f1, v9
	v_add_nc_u32_e32 v9, 0xfffffc10, v9
	s_wait_alu 0xfffd
	v_cndmask_b32_e64 v4, 0, 1, vcc_lo
	v_cmp_ne_u32_e32 vcc_lo, 0, v6
	v_lshrrev_b32_e32 v7, 16, v7
	s_delay_alu instid0(VALU_DEP_3) | instskip(SKIP_4) | instid1(VALU_DEP_3)
	v_and_or_b32 v4, 0xffe, v8, v4
	s_wait_alu 0xfffd
	v_cndmask_b32_e64 v6, 0, 1, vcc_lo
	v_sub_nc_u32_e32 v8, 0x3f1, v11
	v_add_nc_u32_e32 v11, 0xfffffc10, v11
	v_and_or_b32 v6, 0xffe, v10, v6
	v_med3_i32 v10, v12, 0, 13
	v_or_b32_e32 v12, 0x1000, v4
	v_med3_i32 v8, v8, 0, 13
	s_delay_alu instid0(VALU_DEP_4) | instskip(NEXT) | instid1(VALU_DEP_3)
	v_or_b32_e32 v13, 0x1000, v6
	v_lshrrev_b32_e32 v14, v10, v12
	s_delay_alu instid0(VALU_DEP_2) | instskip(NEXT) | instid1(VALU_DEP_2)
	v_lshrrev_b32_e32 v15, v8, v13
	v_lshlrev_b32_e32 v10, v10, v14
	s_delay_alu instid0(VALU_DEP_2) | instskip(NEXT) | instid1(VALU_DEP_2)
	v_lshlrev_b32_e32 v8, v8, v15
	v_cmp_ne_u32_e32 vcc_lo, v10, v12
	v_lshl_or_b32 v12, v9, 12, v4
	s_wait_alu 0xfffd
	v_cndmask_b32_e64 v10, 0, 1, vcc_lo
	v_cmp_ne_u32_e32 vcc_lo, v8, v13
	v_lshl_or_b32 v13, v11, 12, v6
	s_delay_alu instid0(VALU_DEP_3) | instskip(SKIP_3) | instid1(VALU_DEP_2)
	v_or_b32_e32 v10, v14, v10
	s_wait_alu 0xfffd
	v_cndmask_b32_e64 v8, 0, 1, vcc_lo
	v_cmp_gt_i32_e32 vcc_lo, 1, v9
	v_or_b32_e32 v8, v15, v8
	s_wait_alu 0xfffd
	v_cndmask_b32_e32 v10, v12, v10, vcc_lo
	v_cmp_gt_i32_e32 vcc_lo, 1, v11
	s_delay_alu instid0(VALU_DEP_2)
	v_and_b32_e32 v12, 7, v10
	s_wait_alu 0xfffd
	v_cndmask_b32_e32 v8, v13, v8, vcc_lo
	v_cmp_ne_u32_e32 vcc_lo, 0, v4
	v_lshrrev_b32_e32 v10, 2, v10
	v_cmp_eq_u32_e64 s0, 3, v12
	s_delay_alu instid0(VALU_DEP_4)
	v_and_b32_e32 v13, 7, v8
	s_wait_alu 0xfffd
	v_cndmask_b32_e64 v4, 0, 1, vcc_lo
	v_cmp_ne_u32_e32 vcc_lo, 0, v6
	v_lshrrev_b32_e32 v8, 2, v8
	v_cmp_lt_i32_e64 s1, 5, v13
	v_cmp_eq_u32_e64 s2, 3, v13
	s_wait_alu 0xfffd
	v_cndmask_b32_e64 v6, 0, 1, vcc_lo
	v_cmp_lt_i32_e32 vcc_lo, 5, v12
	v_lshl_or_b32 v4, v4, 9, 0x7c00
	s_delay_alu instid0(VALU_DEP_3)
	v_lshl_or_b32 v6, v6, 9, 0x7c00
	s_or_b32 vcc_lo, s0, vcc_lo
	s_wait_alu 0xfffe
	v_add_co_ci_u32_e32 v10, vcc_lo, 0, v10, vcc_lo
	s_or_b32 vcc_lo, s2, s1
	s_wait_alu 0xfffe
	v_add_co_ci_u32_e32 v8, vcc_lo, 0, v8, vcc_lo
	v_cmp_gt_i32_e32 vcc_lo, 31, v9
	s_wait_alu 0xfffd
	v_cndmask_b32_e32 v10, 0x7c00, v10, vcc_lo
	v_cmp_gt_i32_e32 vcc_lo, 31, v11
	s_wait_alu 0xfffd
	v_cndmask_b32_e32 v8, 0x7c00, v8, vcc_lo
	v_cmp_eq_u32_e32 vcc_lo, 0x40f, v9
	s_wait_alu 0xfffd
	v_cndmask_b32_e32 v4, v10, v4, vcc_lo
	v_cmp_eq_u32_e32 vcc_lo, 0x40f, v11
	s_delay_alu instid0(VALU_DEP_2)
	v_and_or_b32 v4, 0x8000, v5, v4
	s_wait_alu 0xfffd
	v_cndmask_b32_e32 v6, v8, v6, vcc_lo
	v_add_co_u32 v2, vcc_lo, v2, s6
	s_wait_alu 0xfffd
	v_add_co_ci_u32_e32 v3, vcc_lo, s7, v3, vcc_lo
	s_delay_alu instid0(VALU_DEP_3) | instskip(SKIP_1) | instid1(VALU_DEP_1)
	v_and_or_b32 v5, 0x8000, v7, v6
	v_and_b32_e32 v4, 0xffff, v4
	v_lshl_or_b32 v4, v5, 16, v4
	global_store_b32 v[2:3], v4, off
	global_load_b32 v6, v24, s[12:13] offset:84
	ds_load_2addr_b32 v[4:5], v21 offset0:21 offset1:28
	s_wait_dscnt 0x0
	v_lshrrev_b32_e32 v7, 16, v4
	s_wait_loadcnt 0x0
	v_lshrrev_b32_e32 v8, 16, v6
	s_delay_alu instid0(VALU_DEP_1) | instskip(SKIP_1) | instid1(VALU_DEP_2)
	v_mul_f16_e32 v9, v7, v8
	v_mul_f16_e32 v8, v4, v8
	v_fmac_f16_e32 v9, v4, v6
	s_delay_alu instid0(VALU_DEP_2) | instskip(NEXT) | instid1(VALU_DEP_2)
	v_fma_f16 v4, v6, v7, -v8
	v_cvt_f32_f16_e32 v6, v9
	s_delay_alu instid0(VALU_DEP_2) | instskip(NEXT) | instid1(VALU_DEP_2)
	v_cvt_f32_f16_e32 v4, v4
	v_cvt_f64_f32_e32 v[6:7], v6
	s_delay_alu instid0(VALU_DEP_2) | instskip(NEXT) | instid1(VALU_DEP_2)
	v_cvt_f64_f32_e32 v[8:9], v4
	v_mul_f64_e32 v[6:7], s[8:9], v[6:7]
	s_delay_alu instid0(VALU_DEP_2) | instskip(NEXT) | instid1(VALU_DEP_2)
	v_mul_f64_e32 v[8:9], s[8:9], v[8:9]
	v_and_or_b32 v4, 0x1ff, v7, v6
	s_delay_alu instid0(VALU_DEP_2)
	v_and_or_b32 v8, 0x1ff, v9, v8
	v_lshrrev_b32_e32 v6, 8, v7
	v_bfe_u32 v10, v7, 20, 11
	v_lshrrev_b32_e32 v11, 8, v9
	v_cmp_ne_u32_e32 vcc_lo, 0, v4
	v_bfe_u32 v12, v9, 20, 11
	v_lshrrev_b32_e32 v7, 16, v7
	v_sub_nc_u32_e32 v13, 0x3f1, v10
	v_add_nc_u32_e32 v10, 0xfffffc10, v10
	s_wait_alu 0xfffd
	v_cndmask_b32_e64 v4, 0, 1, vcc_lo
	v_cmp_ne_u32_e32 vcc_lo, 0, v8
	v_lshrrev_b32_e32 v9, 16, v9
	s_delay_alu instid0(VALU_DEP_3) | instskip(SKIP_4) | instid1(VALU_DEP_3)
	v_and_or_b32 v4, 0xffe, v6, v4
	s_wait_alu 0xfffd
	v_cndmask_b32_e64 v8, 0, 1, vcc_lo
	v_sub_nc_u32_e32 v6, 0x3f1, v12
	v_add_nc_u32_e32 v12, 0xfffffc10, v12
	v_and_or_b32 v8, 0xffe, v11, v8
	v_med3_i32 v11, v13, 0, 13
	v_or_b32_e32 v13, 0x1000, v4
	v_med3_i32 v6, v6, 0, 13
	s_delay_alu instid0(VALU_DEP_4) | instskip(NEXT) | instid1(VALU_DEP_3)
	v_or_b32_e32 v14, 0x1000, v8
	v_lshrrev_b32_e32 v15, v11, v13
	s_delay_alu instid0(VALU_DEP_2) | instskip(NEXT) | instid1(VALU_DEP_2)
	v_lshrrev_b32_e32 v16, v6, v14
	v_lshlrev_b32_e32 v11, v11, v15
	s_delay_alu instid0(VALU_DEP_2) | instskip(NEXT) | instid1(VALU_DEP_2)
	v_lshlrev_b32_e32 v6, v6, v16
	v_cmp_ne_u32_e32 vcc_lo, v11, v13
	v_lshl_or_b32 v13, v10, 12, v4
	s_wait_alu 0xfffd
	v_cndmask_b32_e64 v11, 0, 1, vcc_lo
	v_cmp_ne_u32_e32 vcc_lo, v6, v14
	v_lshl_or_b32 v14, v12, 12, v8
	s_delay_alu instid0(VALU_DEP_3) | instskip(SKIP_3) | instid1(VALU_DEP_2)
	v_or_b32_e32 v11, v15, v11
	s_wait_alu 0xfffd
	v_cndmask_b32_e64 v6, 0, 1, vcc_lo
	v_cmp_gt_i32_e32 vcc_lo, 1, v10
	v_or_b32_e32 v6, v16, v6
	s_wait_alu 0xfffd
	v_cndmask_b32_e32 v11, v13, v11, vcc_lo
	v_cmp_gt_i32_e32 vcc_lo, 1, v12
	s_wait_alu 0xfffd
	s_delay_alu instid0(VALU_DEP_2) | instskip(SKIP_2) | instid1(VALU_DEP_3)
	v_dual_cndmask_b32 v6, v14, v6 :: v_dual_and_b32 v13, 7, v11
	v_cmp_ne_u32_e32 vcc_lo, 0, v4
	v_lshrrev_b32_e32 v11, 2, v11
	v_cmp_eq_u32_e64 s0, 3, v13
	s_delay_alu instid0(VALU_DEP_4)
	v_and_b32_e32 v14, 7, v6
	s_wait_alu 0xfffd
	v_cndmask_b32_e64 v4, 0, 1, vcc_lo
	v_cmp_ne_u32_e32 vcc_lo, 0, v8
	v_lshrrev_b32_e32 v6, 2, v6
	v_cmp_lt_i32_e64 s1, 5, v14
	v_cmp_eq_u32_e64 s2, 3, v14
	s_wait_alu 0xfffd
	v_cndmask_b32_e64 v8, 0, 1, vcc_lo
	v_cmp_lt_i32_e32 vcc_lo, 5, v13
	v_lshl_or_b32 v4, v4, 9, 0x7c00
	s_delay_alu instid0(VALU_DEP_3)
	v_lshl_or_b32 v8, v8, 9, 0x7c00
	s_or_b32 vcc_lo, s0, vcc_lo
	s_wait_alu 0xfffe
	v_add_co_ci_u32_e32 v11, vcc_lo, 0, v11, vcc_lo
	s_or_b32 vcc_lo, s2, s1
	s_wait_alu 0xfffe
	v_add_co_ci_u32_e32 v6, vcc_lo, 0, v6, vcc_lo
	v_cmp_gt_i32_e32 vcc_lo, 31, v10
	s_wait_alu 0xfffd
	v_cndmask_b32_e32 v11, 0x7c00, v11, vcc_lo
	v_cmp_gt_i32_e32 vcc_lo, 31, v12
	s_wait_alu 0xfffd
	v_cndmask_b32_e32 v6, 0x7c00, v6, vcc_lo
	v_cmp_eq_u32_e32 vcc_lo, 0x40f, v10
	s_wait_alu 0xfffd
	v_cndmask_b32_e32 v4, v11, v4, vcc_lo
	v_cmp_eq_u32_e32 vcc_lo, 0x40f, v12
	s_delay_alu instid0(VALU_DEP_2)
	v_and_or_b32 v4, 0x8000, v7, v4
	s_wait_alu 0xfffd
	v_cndmask_b32_e32 v6, v6, v8, vcc_lo
	v_add_co_u32 v2, vcc_lo, v2, s6
	s_wait_alu 0xfffd
	v_add_co_ci_u32_e32 v3, vcc_lo, s7, v3, vcc_lo
	s_delay_alu instid0(VALU_DEP_3) | instskip(SKIP_1) | instid1(VALU_DEP_1)
	v_and_or_b32 v6, 0x8000, v9, v6
	v_and_b32_e32 v4, 0xffff, v4
	v_lshl_or_b32 v4, v6, 16, v4
	v_lshrrev_b32_e32 v6, 16, v5
	global_store_b32 v[2:3], v4, off
	global_load_b32 v4, v24, s[12:13] offset:112
	s_wait_loadcnt 0x0
	v_lshrrev_b32_e32 v7, 16, v4
	s_delay_alu instid0(VALU_DEP_1) | instskip(SKIP_1) | instid1(VALU_DEP_2)
	v_mul_f16_e32 v8, v6, v7
	v_mul_f16_e32 v7, v5, v7
	v_fmac_f16_e32 v8, v5, v4
	s_delay_alu instid0(VALU_DEP_2) | instskip(NEXT) | instid1(VALU_DEP_2)
	v_fma_f16 v4, v4, v6, -v7
	v_cvt_f32_f16_e32 v5, v8
	s_delay_alu instid0(VALU_DEP_2) | instskip(NEXT) | instid1(VALU_DEP_2)
	v_cvt_f32_f16_e32 v6, v4
	v_cvt_f64_f32_e32 v[4:5], v5
	s_delay_alu instid0(VALU_DEP_2) | instskip(NEXT) | instid1(VALU_DEP_2)
	v_cvt_f64_f32_e32 v[6:7], v6
	v_mul_f64_e32 v[4:5], s[8:9], v[4:5]
	s_delay_alu instid0(VALU_DEP_2) | instskip(NEXT) | instid1(VALU_DEP_2)
	v_mul_f64_e32 v[6:7], s[8:9], v[6:7]
	v_and_or_b32 v4, 0x1ff, v5, v4
	s_delay_alu instid0(VALU_DEP_2)
	v_and_or_b32 v6, 0x1ff, v7, v6
	v_lshrrev_b32_e32 v8, 8, v5
	v_bfe_u32 v9, v5, 20, 11
	v_lshrrev_b32_e32 v10, 8, v7
	v_cmp_ne_u32_e32 vcc_lo, 0, v4
	v_bfe_u32 v11, v7, 20, 11
	v_lshrrev_b32_e32 v5, 16, v5
	v_sub_nc_u32_e32 v12, 0x3f1, v9
	v_add_nc_u32_e32 v9, 0xfffffc10, v9
	s_wait_alu 0xfffd
	v_cndmask_b32_e64 v4, 0, 1, vcc_lo
	v_cmp_ne_u32_e32 vcc_lo, 0, v6
	v_lshrrev_b32_e32 v7, 16, v7
	s_delay_alu instid0(VALU_DEP_3) | instskip(SKIP_4) | instid1(VALU_DEP_3)
	v_and_or_b32 v4, 0xffe, v8, v4
	s_wait_alu 0xfffd
	v_cndmask_b32_e64 v6, 0, 1, vcc_lo
	v_sub_nc_u32_e32 v8, 0x3f1, v11
	v_add_nc_u32_e32 v11, 0xfffffc10, v11
	v_and_or_b32 v6, 0xffe, v10, v6
	v_med3_i32 v10, v12, 0, 13
	v_or_b32_e32 v12, 0x1000, v4
	v_med3_i32 v8, v8, 0, 13
	s_delay_alu instid0(VALU_DEP_4) | instskip(NEXT) | instid1(VALU_DEP_3)
	v_or_b32_e32 v13, 0x1000, v6
	v_lshrrev_b32_e32 v14, v10, v12
	s_delay_alu instid0(VALU_DEP_2) | instskip(NEXT) | instid1(VALU_DEP_2)
	v_lshrrev_b32_e32 v15, v8, v13
	v_lshlrev_b32_e32 v10, v10, v14
	s_delay_alu instid0(VALU_DEP_2) | instskip(NEXT) | instid1(VALU_DEP_2)
	v_lshlrev_b32_e32 v8, v8, v15
	v_cmp_ne_u32_e32 vcc_lo, v10, v12
	v_lshl_or_b32 v12, v9, 12, v4
	s_wait_alu 0xfffd
	v_cndmask_b32_e64 v10, 0, 1, vcc_lo
	v_cmp_ne_u32_e32 vcc_lo, v8, v13
	v_lshl_or_b32 v13, v11, 12, v6
	s_delay_alu instid0(VALU_DEP_3) | instskip(SKIP_3) | instid1(VALU_DEP_2)
	v_or_b32_e32 v10, v14, v10
	s_wait_alu 0xfffd
	v_cndmask_b32_e64 v8, 0, 1, vcc_lo
	v_cmp_gt_i32_e32 vcc_lo, 1, v9
	v_or_b32_e32 v8, v15, v8
	s_wait_alu 0xfffd
	v_cndmask_b32_e32 v10, v12, v10, vcc_lo
	v_cmp_gt_i32_e32 vcc_lo, 1, v11
	s_delay_alu instid0(VALU_DEP_2)
	v_and_b32_e32 v12, 7, v10
	s_wait_alu 0xfffd
	v_cndmask_b32_e32 v8, v13, v8, vcc_lo
	v_cmp_ne_u32_e32 vcc_lo, 0, v4
	v_lshrrev_b32_e32 v10, 2, v10
	v_cmp_eq_u32_e64 s0, 3, v12
	s_delay_alu instid0(VALU_DEP_4)
	v_and_b32_e32 v13, 7, v8
	s_wait_alu 0xfffd
	v_cndmask_b32_e64 v4, 0, 1, vcc_lo
	v_cmp_ne_u32_e32 vcc_lo, 0, v6
	v_lshrrev_b32_e32 v8, 2, v8
	v_cmp_lt_i32_e64 s1, 5, v13
	v_cmp_eq_u32_e64 s2, 3, v13
	s_wait_alu 0xfffd
	v_cndmask_b32_e64 v6, 0, 1, vcc_lo
	v_cmp_lt_i32_e32 vcc_lo, 5, v12
	v_lshl_or_b32 v4, v4, 9, 0x7c00
	s_delay_alu instid0(VALU_DEP_3)
	v_lshl_or_b32 v6, v6, 9, 0x7c00
	s_or_b32 vcc_lo, s0, vcc_lo
	s_wait_alu 0xfffe
	v_add_co_ci_u32_e32 v10, vcc_lo, 0, v10, vcc_lo
	s_or_b32 vcc_lo, s2, s1
	s_wait_alu 0xfffe
	v_add_co_ci_u32_e32 v8, vcc_lo, 0, v8, vcc_lo
	v_cmp_gt_i32_e32 vcc_lo, 31, v9
	s_wait_alu 0xfffd
	v_cndmask_b32_e32 v10, 0x7c00, v10, vcc_lo
	v_cmp_gt_i32_e32 vcc_lo, 31, v11
	s_wait_alu 0xfffd
	v_cndmask_b32_e32 v8, 0x7c00, v8, vcc_lo
	v_cmp_eq_u32_e32 vcc_lo, 0x40f, v9
	s_wait_alu 0xfffd
	v_cndmask_b32_e32 v4, v10, v4, vcc_lo
	v_cmp_eq_u32_e32 vcc_lo, 0x40f, v11
	s_delay_alu instid0(VALU_DEP_2)
	v_and_or_b32 v4, 0x8000, v5, v4
	s_wait_alu 0xfffd
	v_cndmask_b32_e32 v6, v8, v6, vcc_lo
	v_add_co_u32 v2, vcc_lo, v2, s6
	s_wait_alu 0xfffd
	v_add_co_ci_u32_e32 v3, vcc_lo, s7, v3, vcc_lo
	s_delay_alu instid0(VALU_DEP_3) | instskip(SKIP_1) | instid1(VALU_DEP_1)
	v_and_or_b32 v5, 0x8000, v7, v6
	v_and_b32_e32 v4, 0xffff, v4
	v_lshl_or_b32 v4, v5, 16, v4
	global_store_b32 v[2:3], v4, off
	global_load_b32 v6, v24, s[12:13] offset:140
	ds_load_2addr_b32 v[4:5], v21 offset0:35 offset1:42
	s_wait_dscnt 0x0
	v_lshrrev_b32_e32 v7, 16, v4
	s_wait_loadcnt 0x0
	v_lshrrev_b32_e32 v8, 16, v6
	s_delay_alu instid0(VALU_DEP_1) | instskip(SKIP_1) | instid1(VALU_DEP_2)
	v_mul_f16_e32 v9, v7, v8
	v_mul_f16_e32 v8, v4, v8
	v_fmac_f16_e32 v9, v4, v6
	s_delay_alu instid0(VALU_DEP_2) | instskip(NEXT) | instid1(VALU_DEP_2)
	v_fma_f16 v4, v6, v7, -v8
	v_cvt_f32_f16_e32 v6, v9
	s_delay_alu instid0(VALU_DEP_2) | instskip(NEXT) | instid1(VALU_DEP_2)
	v_cvt_f32_f16_e32 v4, v4
	v_cvt_f64_f32_e32 v[6:7], v6
	s_delay_alu instid0(VALU_DEP_2) | instskip(NEXT) | instid1(VALU_DEP_2)
	v_cvt_f64_f32_e32 v[8:9], v4
	v_mul_f64_e32 v[6:7], s[8:9], v[6:7]
	s_delay_alu instid0(VALU_DEP_2) | instskip(NEXT) | instid1(VALU_DEP_2)
	v_mul_f64_e32 v[8:9], s[8:9], v[8:9]
	v_and_or_b32 v4, 0x1ff, v7, v6
	s_delay_alu instid0(VALU_DEP_2)
	v_and_or_b32 v8, 0x1ff, v9, v8
	v_lshrrev_b32_e32 v6, 8, v7
	v_bfe_u32 v10, v7, 20, 11
	v_lshrrev_b32_e32 v11, 8, v9
	v_cmp_ne_u32_e32 vcc_lo, 0, v4
	v_bfe_u32 v12, v9, 20, 11
	v_lshrrev_b32_e32 v7, 16, v7
	v_sub_nc_u32_e32 v13, 0x3f1, v10
	v_add_nc_u32_e32 v10, 0xfffffc10, v10
	s_wait_alu 0xfffd
	v_cndmask_b32_e64 v4, 0, 1, vcc_lo
	v_cmp_ne_u32_e32 vcc_lo, 0, v8
	v_lshrrev_b32_e32 v9, 16, v9
	s_delay_alu instid0(VALU_DEP_3) | instskip(SKIP_4) | instid1(VALU_DEP_3)
	v_and_or_b32 v4, 0xffe, v6, v4
	s_wait_alu 0xfffd
	v_cndmask_b32_e64 v8, 0, 1, vcc_lo
	v_sub_nc_u32_e32 v6, 0x3f1, v12
	v_add_nc_u32_e32 v12, 0xfffffc10, v12
	v_and_or_b32 v8, 0xffe, v11, v8
	v_med3_i32 v11, v13, 0, 13
	v_or_b32_e32 v13, 0x1000, v4
	v_med3_i32 v6, v6, 0, 13
	s_delay_alu instid0(VALU_DEP_4) | instskip(NEXT) | instid1(VALU_DEP_3)
	v_or_b32_e32 v14, 0x1000, v8
	v_lshrrev_b32_e32 v15, v11, v13
	s_delay_alu instid0(VALU_DEP_2) | instskip(NEXT) | instid1(VALU_DEP_2)
	v_lshrrev_b32_e32 v16, v6, v14
	v_lshlrev_b32_e32 v11, v11, v15
	s_delay_alu instid0(VALU_DEP_2) | instskip(NEXT) | instid1(VALU_DEP_2)
	v_lshlrev_b32_e32 v6, v6, v16
	v_cmp_ne_u32_e32 vcc_lo, v11, v13
	v_lshl_or_b32 v13, v10, 12, v4
	s_wait_alu 0xfffd
	v_cndmask_b32_e64 v11, 0, 1, vcc_lo
	v_cmp_ne_u32_e32 vcc_lo, v6, v14
	v_lshl_or_b32 v14, v12, 12, v8
	s_delay_alu instid0(VALU_DEP_3) | instskip(SKIP_3) | instid1(VALU_DEP_2)
	v_or_b32_e32 v11, v15, v11
	s_wait_alu 0xfffd
	v_cndmask_b32_e64 v6, 0, 1, vcc_lo
	v_cmp_gt_i32_e32 vcc_lo, 1, v10
	v_or_b32_e32 v6, v16, v6
	s_wait_alu 0xfffd
	v_cndmask_b32_e32 v11, v13, v11, vcc_lo
	v_cmp_gt_i32_e32 vcc_lo, 1, v12
	s_wait_alu 0xfffd
	s_delay_alu instid0(VALU_DEP_2) | instskip(SKIP_2) | instid1(VALU_DEP_3)
	v_dual_cndmask_b32 v6, v14, v6 :: v_dual_and_b32 v13, 7, v11
	v_cmp_ne_u32_e32 vcc_lo, 0, v4
	v_lshrrev_b32_e32 v11, 2, v11
	v_cmp_eq_u32_e64 s0, 3, v13
	s_delay_alu instid0(VALU_DEP_4)
	v_and_b32_e32 v14, 7, v6
	s_wait_alu 0xfffd
	v_cndmask_b32_e64 v4, 0, 1, vcc_lo
	v_cmp_ne_u32_e32 vcc_lo, 0, v8
	v_lshrrev_b32_e32 v6, 2, v6
	v_cmp_lt_i32_e64 s1, 5, v14
	v_cmp_eq_u32_e64 s2, 3, v14
	s_wait_alu 0xfffd
	v_cndmask_b32_e64 v8, 0, 1, vcc_lo
	v_cmp_lt_i32_e32 vcc_lo, 5, v13
	v_lshl_or_b32 v4, v4, 9, 0x7c00
	s_delay_alu instid0(VALU_DEP_3)
	v_lshl_or_b32 v8, v8, 9, 0x7c00
	s_or_b32 vcc_lo, s0, vcc_lo
	s_wait_alu 0xfffe
	v_add_co_ci_u32_e32 v11, vcc_lo, 0, v11, vcc_lo
	s_or_b32 vcc_lo, s2, s1
	s_wait_alu 0xfffe
	v_add_co_ci_u32_e32 v6, vcc_lo, 0, v6, vcc_lo
	v_cmp_gt_i32_e32 vcc_lo, 31, v10
	s_wait_alu 0xfffd
	v_cndmask_b32_e32 v11, 0x7c00, v11, vcc_lo
	v_cmp_gt_i32_e32 vcc_lo, 31, v12
	s_wait_alu 0xfffd
	v_cndmask_b32_e32 v6, 0x7c00, v6, vcc_lo
	v_cmp_eq_u32_e32 vcc_lo, 0x40f, v10
	s_wait_alu 0xfffd
	v_cndmask_b32_e32 v4, v11, v4, vcc_lo
	v_cmp_eq_u32_e32 vcc_lo, 0x40f, v12
	s_delay_alu instid0(VALU_DEP_2)
	v_and_or_b32 v4, 0x8000, v7, v4
	s_wait_alu 0xfffd
	v_cndmask_b32_e32 v6, v6, v8, vcc_lo
	v_add_co_u32 v2, vcc_lo, v2, s6
	s_wait_alu 0xfffd
	v_add_co_ci_u32_e32 v3, vcc_lo, s7, v3, vcc_lo
	s_delay_alu instid0(VALU_DEP_3) | instskip(SKIP_1) | instid1(VALU_DEP_1)
	v_and_or_b32 v6, 0x8000, v9, v6
	v_and_b32_e32 v4, 0xffff, v4
	v_lshl_or_b32 v4, v6, 16, v4
	v_lshrrev_b32_e32 v6, 16, v5
	global_store_b32 v[2:3], v4, off
	global_load_b32 v4, v24, s[12:13] offset:168
	s_wait_loadcnt 0x0
	v_lshrrev_b32_e32 v7, 16, v4
	s_delay_alu instid0(VALU_DEP_1) | instskip(SKIP_1) | instid1(VALU_DEP_2)
	v_mul_f16_e32 v8, v6, v7
	v_mul_f16_e32 v7, v5, v7
	v_fmac_f16_e32 v8, v5, v4
	s_delay_alu instid0(VALU_DEP_2) | instskip(NEXT) | instid1(VALU_DEP_2)
	v_fma_f16 v4, v4, v6, -v7
	v_cvt_f32_f16_e32 v5, v8
	s_delay_alu instid0(VALU_DEP_2) | instskip(NEXT) | instid1(VALU_DEP_2)
	v_cvt_f32_f16_e32 v6, v4
	v_cvt_f64_f32_e32 v[4:5], v5
	s_delay_alu instid0(VALU_DEP_2) | instskip(NEXT) | instid1(VALU_DEP_2)
	v_cvt_f64_f32_e32 v[6:7], v6
	v_mul_f64_e32 v[4:5], s[8:9], v[4:5]
	s_delay_alu instid0(VALU_DEP_2) | instskip(NEXT) | instid1(VALU_DEP_2)
	v_mul_f64_e32 v[6:7], s[8:9], v[6:7]
	v_and_or_b32 v4, 0x1ff, v5, v4
	s_delay_alu instid0(VALU_DEP_2)
	v_and_or_b32 v6, 0x1ff, v7, v6
	v_lshrrev_b32_e32 v8, 8, v5
	v_bfe_u32 v9, v5, 20, 11
	v_lshrrev_b32_e32 v10, 8, v7
	v_cmp_ne_u32_e32 vcc_lo, 0, v4
	v_bfe_u32 v11, v7, 20, 11
	v_lshrrev_b32_e32 v5, 16, v5
	v_sub_nc_u32_e32 v12, 0x3f1, v9
	v_add_nc_u32_e32 v9, 0xfffffc10, v9
	s_wait_alu 0xfffd
	v_cndmask_b32_e64 v4, 0, 1, vcc_lo
	v_cmp_ne_u32_e32 vcc_lo, 0, v6
	v_lshrrev_b32_e32 v7, 16, v7
	s_delay_alu instid0(VALU_DEP_3) | instskip(SKIP_4) | instid1(VALU_DEP_3)
	v_and_or_b32 v4, 0xffe, v8, v4
	s_wait_alu 0xfffd
	v_cndmask_b32_e64 v6, 0, 1, vcc_lo
	v_sub_nc_u32_e32 v8, 0x3f1, v11
	v_add_nc_u32_e32 v11, 0xfffffc10, v11
	v_and_or_b32 v6, 0xffe, v10, v6
	v_med3_i32 v10, v12, 0, 13
	v_or_b32_e32 v12, 0x1000, v4
	v_med3_i32 v8, v8, 0, 13
	s_delay_alu instid0(VALU_DEP_4) | instskip(NEXT) | instid1(VALU_DEP_3)
	v_or_b32_e32 v13, 0x1000, v6
	v_lshrrev_b32_e32 v14, v10, v12
	s_delay_alu instid0(VALU_DEP_2) | instskip(NEXT) | instid1(VALU_DEP_2)
	v_lshrrev_b32_e32 v15, v8, v13
	v_lshlrev_b32_e32 v10, v10, v14
	s_delay_alu instid0(VALU_DEP_2) | instskip(NEXT) | instid1(VALU_DEP_2)
	v_lshlrev_b32_e32 v8, v8, v15
	v_cmp_ne_u32_e32 vcc_lo, v10, v12
	v_lshl_or_b32 v12, v9, 12, v4
	s_wait_alu 0xfffd
	v_cndmask_b32_e64 v10, 0, 1, vcc_lo
	v_cmp_ne_u32_e32 vcc_lo, v8, v13
	v_lshl_or_b32 v13, v11, 12, v6
	s_delay_alu instid0(VALU_DEP_3) | instskip(SKIP_3) | instid1(VALU_DEP_2)
	v_or_b32_e32 v10, v14, v10
	s_wait_alu 0xfffd
	v_cndmask_b32_e64 v8, 0, 1, vcc_lo
	v_cmp_gt_i32_e32 vcc_lo, 1, v9
	v_or_b32_e32 v8, v15, v8
	s_wait_alu 0xfffd
	v_cndmask_b32_e32 v10, v12, v10, vcc_lo
	v_cmp_gt_i32_e32 vcc_lo, 1, v11
	s_delay_alu instid0(VALU_DEP_2)
	v_and_b32_e32 v12, 7, v10
	s_wait_alu 0xfffd
	v_cndmask_b32_e32 v8, v13, v8, vcc_lo
	v_cmp_ne_u32_e32 vcc_lo, 0, v4
	v_lshrrev_b32_e32 v10, 2, v10
	v_cmp_eq_u32_e64 s0, 3, v12
	s_delay_alu instid0(VALU_DEP_4)
	v_and_b32_e32 v13, 7, v8
	s_wait_alu 0xfffd
	v_cndmask_b32_e64 v4, 0, 1, vcc_lo
	v_cmp_ne_u32_e32 vcc_lo, 0, v6
	v_lshrrev_b32_e32 v8, 2, v8
	v_cmp_lt_i32_e64 s1, 5, v13
	v_cmp_eq_u32_e64 s2, 3, v13
	s_wait_alu 0xfffd
	v_cndmask_b32_e64 v6, 0, 1, vcc_lo
	v_cmp_lt_i32_e32 vcc_lo, 5, v12
	v_lshl_or_b32 v4, v4, 9, 0x7c00
	s_delay_alu instid0(VALU_DEP_3)
	v_lshl_or_b32 v6, v6, 9, 0x7c00
	s_or_b32 vcc_lo, s0, vcc_lo
	s_wait_alu 0xfffe
	v_add_co_ci_u32_e32 v10, vcc_lo, 0, v10, vcc_lo
	s_or_b32 vcc_lo, s2, s1
	s_wait_alu 0xfffe
	v_add_co_ci_u32_e32 v8, vcc_lo, 0, v8, vcc_lo
	v_cmp_gt_i32_e32 vcc_lo, 31, v9
	s_wait_alu 0xfffd
	v_cndmask_b32_e32 v10, 0x7c00, v10, vcc_lo
	v_cmp_gt_i32_e32 vcc_lo, 31, v11
	s_wait_alu 0xfffd
	v_cndmask_b32_e32 v8, 0x7c00, v8, vcc_lo
	v_cmp_eq_u32_e32 vcc_lo, 0x40f, v9
	s_wait_alu 0xfffd
	v_cndmask_b32_e32 v4, v10, v4, vcc_lo
	v_cmp_eq_u32_e32 vcc_lo, 0x40f, v11
	s_delay_alu instid0(VALU_DEP_2)
	v_and_or_b32 v4, 0x8000, v5, v4
	s_wait_alu 0xfffd
	v_cndmask_b32_e32 v6, v8, v6, vcc_lo
	v_add_co_u32 v2, vcc_lo, v2, s6
	s_wait_alu 0xfffd
	v_add_co_ci_u32_e32 v3, vcc_lo, s7, v3, vcc_lo
	s_delay_alu instid0(VALU_DEP_3) | instskip(SKIP_1) | instid1(VALU_DEP_1)
	v_and_or_b32 v5, 0x8000, v7, v6
	v_and_b32_e32 v4, 0xffff, v4
	v_lshl_or_b32 v4, v5, 16, v4
	global_store_b32 v[2:3], v4, off
	global_load_b32 v6, v24, s[12:13] offset:196
	ds_load_2addr_b32 v[4:5], v21 offset0:49 offset1:56
	s_wait_dscnt 0x0
	v_lshrrev_b32_e32 v7, 16, v4
	s_wait_loadcnt 0x0
	v_lshrrev_b32_e32 v8, 16, v6
	s_delay_alu instid0(VALU_DEP_1) | instskip(SKIP_1) | instid1(VALU_DEP_2)
	v_mul_f16_e32 v9, v7, v8
	v_mul_f16_e32 v8, v4, v8
	v_fmac_f16_e32 v9, v4, v6
	s_delay_alu instid0(VALU_DEP_2) | instskip(NEXT) | instid1(VALU_DEP_2)
	v_fma_f16 v4, v6, v7, -v8
	v_cvt_f32_f16_e32 v6, v9
	s_delay_alu instid0(VALU_DEP_2) | instskip(NEXT) | instid1(VALU_DEP_2)
	v_cvt_f32_f16_e32 v4, v4
	v_cvt_f64_f32_e32 v[6:7], v6
	s_delay_alu instid0(VALU_DEP_2) | instskip(NEXT) | instid1(VALU_DEP_2)
	v_cvt_f64_f32_e32 v[8:9], v4
	v_mul_f64_e32 v[6:7], s[8:9], v[6:7]
	s_delay_alu instid0(VALU_DEP_2) | instskip(NEXT) | instid1(VALU_DEP_2)
	v_mul_f64_e32 v[8:9], s[8:9], v[8:9]
	v_and_or_b32 v4, 0x1ff, v7, v6
	s_delay_alu instid0(VALU_DEP_2)
	v_and_or_b32 v8, 0x1ff, v9, v8
	v_lshrrev_b32_e32 v6, 8, v7
	v_bfe_u32 v10, v7, 20, 11
	v_lshrrev_b32_e32 v11, 8, v9
	v_cmp_ne_u32_e32 vcc_lo, 0, v4
	v_bfe_u32 v12, v9, 20, 11
	v_lshrrev_b32_e32 v7, 16, v7
	v_sub_nc_u32_e32 v13, 0x3f1, v10
	v_add_nc_u32_e32 v10, 0xfffffc10, v10
	s_wait_alu 0xfffd
	v_cndmask_b32_e64 v4, 0, 1, vcc_lo
	v_cmp_ne_u32_e32 vcc_lo, 0, v8
	v_lshrrev_b32_e32 v9, 16, v9
	s_delay_alu instid0(VALU_DEP_3) | instskip(SKIP_4) | instid1(VALU_DEP_3)
	v_and_or_b32 v4, 0xffe, v6, v4
	s_wait_alu 0xfffd
	v_cndmask_b32_e64 v8, 0, 1, vcc_lo
	v_sub_nc_u32_e32 v6, 0x3f1, v12
	v_add_nc_u32_e32 v12, 0xfffffc10, v12
	v_and_or_b32 v8, 0xffe, v11, v8
	v_med3_i32 v11, v13, 0, 13
	v_or_b32_e32 v13, 0x1000, v4
	v_med3_i32 v6, v6, 0, 13
	s_delay_alu instid0(VALU_DEP_4) | instskip(NEXT) | instid1(VALU_DEP_3)
	v_or_b32_e32 v14, 0x1000, v8
	v_lshrrev_b32_e32 v15, v11, v13
	s_delay_alu instid0(VALU_DEP_2) | instskip(NEXT) | instid1(VALU_DEP_2)
	v_lshrrev_b32_e32 v16, v6, v14
	v_lshlrev_b32_e32 v11, v11, v15
	s_delay_alu instid0(VALU_DEP_2) | instskip(NEXT) | instid1(VALU_DEP_2)
	v_lshlrev_b32_e32 v6, v6, v16
	v_cmp_ne_u32_e32 vcc_lo, v11, v13
	v_lshl_or_b32 v13, v10, 12, v4
	s_wait_alu 0xfffd
	v_cndmask_b32_e64 v11, 0, 1, vcc_lo
	v_cmp_ne_u32_e32 vcc_lo, v6, v14
	v_lshl_or_b32 v14, v12, 12, v8
	s_delay_alu instid0(VALU_DEP_3) | instskip(SKIP_3) | instid1(VALU_DEP_2)
	v_or_b32_e32 v11, v15, v11
	s_wait_alu 0xfffd
	v_cndmask_b32_e64 v6, 0, 1, vcc_lo
	v_cmp_gt_i32_e32 vcc_lo, 1, v10
	v_or_b32_e32 v6, v16, v6
	s_wait_alu 0xfffd
	v_cndmask_b32_e32 v11, v13, v11, vcc_lo
	v_cmp_gt_i32_e32 vcc_lo, 1, v12
	s_wait_alu 0xfffd
	s_delay_alu instid0(VALU_DEP_2) | instskip(SKIP_2) | instid1(VALU_DEP_3)
	v_dual_cndmask_b32 v6, v14, v6 :: v_dual_and_b32 v13, 7, v11
	v_cmp_ne_u32_e32 vcc_lo, 0, v4
	v_lshrrev_b32_e32 v11, 2, v11
	v_cmp_eq_u32_e64 s0, 3, v13
	s_delay_alu instid0(VALU_DEP_4)
	v_and_b32_e32 v14, 7, v6
	s_wait_alu 0xfffd
	v_cndmask_b32_e64 v4, 0, 1, vcc_lo
	v_cmp_ne_u32_e32 vcc_lo, 0, v8
	v_lshrrev_b32_e32 v6, 2, v6
	v_cmp_lt_i32_e64 s1, 5, v14
	v_cmp_eq_u32_e64 s2, 3, v14
	s_wait_alu 0xfffd
	v_cndmask_b32_e64 v8, 0, 1, vcc_lo
	v_cmp_lt_i32_e32 vcc_lo, 5, v13
	v_lshl_or_b32 v4, v4, 9, 0x7c00
	s_delay_alu instid0(VALU_DEP_3)
	v_lshl_or_b32 v8, v8, 9, 0x7c00
	s_or_b32 vcc_lo, s0, vcc_lo
	s_wait_alu 0xfffe
	v_add_co_ci_u32_e32 v11, vcc_lo, 0, v11, vcc_lo
	s_or_b32 vcc_lo, s2, s1
	s_wait_alu 0xfffe
	v_add_co_ci_u32_e32 v6, vcc_lo, 0, v6, vcc_lo
	v_cmp_gt_i32_e32 vcc_lo, 31, v10
	s_wait_alu 0xfffd
	v_cndmask_b32_e32 v11, 0x7c00, v11, vcc_lo
	v_cmp_gt_i32_e32 vcc_lo, 31, v12
	s_wait_alu 0xfffd
	v_cndmask_b32_e32 v6, 0x7c00, v6, vcc_lo
	v_cmp_eq_u32_e32 vcc_lo, 0x40f, v10
	s_wait_alu 0xfffd
	v_cndmask_b32_e32 v4, v11, v4, vcc_lo
	v_cmp_eq_u32_e32 vcc_lo, 0x40f, v12
	s_delay_alu instid0(VALU_DEP_2)
	v_and_or_b32 v4, 0x8000, v7, v4
	s_wait_alu 0xfffd
	v_cndmask_b32_e32 v6, v6, v8, vcc_lo
	v_add_co_u32 v2, vcc_lo, v2, s6
	s_wait_alu 0xfffd
	v_add_co_ci_u32_e32 v3, vcc_lo, s7, v3, vcc_lo
	s_delay_alu instid0(VALU_DEP_3) | instskip(SKIP_1) | instid1(VALU_DEP_1)
	v_and_or_b32 v6, 0x8000, v9, v6
	v_and_b32_e32 v4, 0xffff, v4
	v_lshl_or_b32 v4, v6, 16, v4
	v_lshrrev_b32_e32 v6, 16, v5
	global_store_b32 v[2:3], v4, off
	global_load_b32 v4, v24, s[12:13] offset:224
	v_mad_co_u64_u32 v[2:3], null, s4, 56, v[2:3]
	s_wait_loadcnt 0x0
	v_lshrrev_b32_e32 v7, 16, v4
	s_delay_alu instid0(VALU_DEP_1) | instskip(SKIP_1) | instid1(VALU_DEP_2)
	v_mul_f16_e32 v8, v6, v7
	v_mul_f16_e32 v7, v5, v7
	v_fmac_f16_e32 v8, v5, v4
	s_delay_alu instid0(VALU_DEP_2) | instskip(NEXT) | instid1(VALU_DEP_2)
	v_fma_f16 v4, v4, v6, -v7
	v_cvt_f32_f16_e32 v5, v8
	s_delay_alu instid0(VALU_DEP_2) | instskip(NEXT) | instid1(VALU_DEP_2)
	v_cvt_f32_f16_e32 v6, v4
	v_cvt_f64_f32_e32 v[4:5], v5
	s_delay_alu instid0(VALU_DEP_2) | instskip(NEXT) | instid1(VALU_DEP_2)
	v_cvt_f64_f32_e32 v[6:7], v6
	v_mul_f64_e32 v[4:5], s[8:9], v[4:5]
	s_delay_alu instid0(VALU_DEP_2) | instskip(NEXT) | instid1(VALU_DEP_2)
	v_mul_f64_e32 v[6:7], s[8:9], v[6:7]
	v_and_or_b32 v4, 0x1ff, v5, v4
	s_delay_alu instid0(VALU_DEP_2)
	v_and_or_b32 v6, 0x1ff, v7, v6
	v_lshrrev_b32_e32 v8, 8, v5
	v_bfe_u32 v10, v5, 20, 11
	v_bfe_u32 v11, v7, 20, 11
	v_cmp_ne_u32_e32 vcc_lo, 0, v4
	v_lshrrev_b32_e32 v9, 8, v7
	v_lshrrev_b32_e32 v7, 16, v7
	v_sub_nc_u32_e32 v12, 0x3f1, v10
	v_sub_nc_u32_e32 v13, 0x3f1, v11
	s_wait_alu 0xfffd
	v_cndmask_b32_e64 v4, 0, 1, vcc_lo
	v_cmp_ne_u32_e32 vcc_lo, 0, v6
	v_add_nc_u32_e32 v11, 0xfffffc10, v11
	s_delay_alu instid0(VALU_DEP_3)
	v_and_or_b32 v14, 0xffe, v8, v4
	s_wait_alu 0xfffd
	v_cndmask_b32_e64 v6, 0, 1, vcc_lo
	v_med3_i32 v4, v12, 0, 13
	v_med3_i32 v12, v13, 0, 13
	v_or_b32_e32 v13, 0x1000, v14
	s_delay_alu instid0(VALU_DEP_4) | instskip(SKIP_1) | instid1(VALU_DEP_3)
	v_and_or_b32 v6, 0xffe, v9, v6
	v_mad_co_u64_u32 v[8:9], null, s4, v25, 0
	v_lshrrev_b32_e32 v16, v4, v13
	s_delay_alu instid0(VALU_DEP_3) | instskip(NEXT) | instid1(VALU_DEP_2)
	v_or_b32_e32 v15, 0x1000, v6
	v_lshlrev_b32_e32 v18, v4, v16
	s_delay_alu instid0(VALU_DEP_2) | instskip(SKIP_1) | instid1(VALU_DEP_3)
	v_lshrrev_b32_e32 v17, v12, v15
	v_mov_b32_e32 v4, v9
	v_cmp_ne_u32_e32 vcc_lo, v18, v13
	s_delay_alu instid0(VALU_DEP_3) | instskip(SKIP_3) | instid1(VALU_DEP_3)
	v_lshlrev_b32_e32 v9, v12, v17
	v_add_nc_u32_e32 v12, 0xfffffc10, v10
	s_wait_alu 0xfffd
	v_cndmask_b32_e64 v13, 0, 1, vcc_lo
	v_cmp_ne_u32_e32 vcc_lo, v9, v15
	v_mad_co_u64_u32 v[9:10], null, s5, v25, v[4:5]
	v_lshl_or_b32 v4, v12, 12, v14
	s_delay_alu instid0(VALU_DEP_4)
	v_or_b32_e32 v10, v16, v13
	s_wait_alu 0xfffd
	v_cndmask_b32_e64 v15, 0, 1, vcc_lo
	v_cmp_gt_i32_e32 vcc_lo, 1, v12
	v_lshl_or_b32 v13, v11, 12, v6
	v_lshrrev_b32_e32 v5, 16, v5
	s_delay_alu instid0(VALU_DEP_4)
	v_or_b32_e32 v15, v17, v15
	s_wait_alu 0xfffd
	v_cndmask_b32_e32 v4, v4, v10, vcc_lo
	v_cmp_gt_i32_e32 vcc_lo, 1, v11
	s_wait_alu 0xfffd
	v_cndmask_b32_e32 v10, v13, v15, vcc_lo
	v_cmp_ne_u32_e32 vcc_lo, 0, v14
	v_and_b32_e32 v14, 7, v4
	v_lshrrev_b32_e32 v4, 2, v4
	s_delay_alu instid0(VALU_DEP_4)
	v_and_b32_e32 v15, 7, v10
	s_wait_alu 0xfffd
	v_cndmask_b32_e64 v13, 0, 1, vcc_lo
	v_cmp_ne_u32_e32 vcc_lo, 0, v6
	v_cmp_eq_u32_e64 s0, 3, v14
	v_lshrrev_b32_e32 v10, 2, v10
	v_cmp_lt_i32_e64 s1, 5, v15
	v_cmp_eq_u32_e64 s2, 3, v15
	s_wait_alu 0xfffd
	v_cndmask_b32_e64 v6, 0, 1, vcc_lo
	v_cmp_lt_i32_e32 vcc_lo, 5, v14
	v_lshl_or_b32 v13, v13, 9, 0x7c00
	s_delay_alu instid0(VALU_DEP_3)
	v_lshl_or_b32 v6, v6, 9, 0x7c00
	s_or_b32 vcc_lo, s0, vcc_lo
	s_wait_alu 0xfffe
	v_add_co_ci_u32_e32 v4, vcc_lo, 0, v4, vcc_lo
	s_or_b32 vcc_lo, s2, s1
	s_wait_alu 0xfffe
	v_add_co_ci_u32_e32 v10, vcc_lo, 0, v10, vcc_lo
	v_cmp_gt_i32_e32 vcc_lo, 31, v12
	s_wait_alu 0xfffd
	v_cndmask_b32_e32 v4, 0x7c00, v4, vcc_lo
	v_cmp_gt_i32_e32 vcc_lo, 31, v11
	s_wait_alu 0xfffd
	v_cndmask_b32_e32 v10, 0x7c00, v10, vcc_lo
	v_cmp_eq_u32_e32 vcc_lo, 0x40f, v12
	s_wait_alu 0xfffd
	v_cndmask_b32_e32 v4, v4, v13, vcc_lo
	v_cmp_eq_u32_e32 vcc_lo, 0x40f, v11
	s_wait_alu 0xfffd
	v_cndmask_b32_e32 v6, v10, v6, vcc_lo
	s_delay_alu instid0(VALU_DEP_3) | instskip(SKIP_1) | instid1(VALU_DEP_3)
	v_and_or_b32 v10, 0x8000, v5, v4
	v_lshlrev_b64_e32 v[4:5], 2, v[8:9]
	v_and_or_b32 v6, 0x8000, v7, v6
	s_delay_alu instid0(VALU_DEP_3) | instskip(NEXT) | instid1(VALU_DEP_3)
	v_and_b32_e32 v7, 0xffff, v10
	v_add_co_u32 v4, vcc_lo, v0, v4
	s_wait_alu 0xfffd
	s_delay_alu instid0(VALU_DEP_4) | instskip(NEXT) | instid1(VALU_DEP_3)
	v_add_co_ci_u32_e32 v5, vcc_lo, v1, v5, vcc_lo
	v_lshl_or_b32 v6, v6, 16, v7
	global_store_b32 v[4:5], v6, off
	global_load_b32 v6, v24, s[12:13] offset:252
	ds_load_2addr_b32 v[4:5], v21 offset0:63 offset1:70
	s_wait_dscnt 0x0
	v_lshrrev_b32_e32 v7, 16, v4
	s_wait_loadcnt 0x0
	v_lshrrev_b32_e32 v8, 16, v6
	s_delay_alu instid0(VALU_DEP_1) | instskip(SKIP_1) | instid1(VALU_DEP_2)
	v_mul_f16_e32 v9, v7, v8
	v_mul_f16_e32 v8, v4, v8
	v_fmac_f16_e32 v9, v4, v6
	s_delay_alu instid0(VALU_DEP_2) | instskip(NEXT) | instid1(VALU_DEP_2)
	v_fma_f16 v4, v6, v7, -v8
	v_cvt_f32_f16_e32 v6, v9
	s_delay_alu instid0(VALU_DEP_2) | instskip(NEXT) | instid1(VALU_DEP_2)
	v_cvt_f32_f16_e32 v4, v4
	v_cvt_f64_f32_e32 v[6:7], v6
	s_delay_alu instid0(VALU_DEP_2) | instskip(NEXT) | instid1(VALU_DEP_2)
	v_cvt_f64_f32_e32 v[8:9], v4
	v_mul_f64_e32 v[6:7], s[8:9], v[6:7]
	s_delay_alu instid0(VALU_DEP_2) | instskip(NEXT) | instid1(VALU_DEP_2)
	v_mul_f64_e32 v[8:9], s[8:9], v[8:9]
	v_and_or_b32 v4, 0x1ff, v7, v6
	s_delay_alu instid0(VALU_DEP_2)
	v_and_or_b32 v8, 0x1ff, v9, v8
	v_lshrrev_b32_e32 v6, 8, v7
	v_bfe_u32 v10, v7, 20, 11
	v_lshrrev_b32_e32 v11, 8, v9
	v_cmp_ne_u32_e32 vcc_lo, 0, v4
	v_bfe_u32 v12, v9, 20, 11
	v_lshrrev_b32_e32 v7, 16, v7
	v_sub_nc_u32_e32 v13, 0x3f1, v10
	v_add_nc_u32_e32 v10, 0xfffffc10, v10
	s_wait_alu 0xfffd
	v_cndmask_b32_e64 v4, 0, 1, vcc_lo
	v_cmp_ne_u32_e32 vcc_lo, 0, v8
	v_lshrrev_b32_e32 v9, 16, v9
	s_delay_alu instid0(VALU_DEP_3) | instskip(SKIP_4) | instid1(VALU_DEP_3)
	v_and_or_b32 v4, 0xffe, v6, v4
	s_wait_alu 0xfffd
	v_cndmask_b32_e64 v8, 0, 1, vcc_lo
	v_sub_nc_u32_e32 v6, 0x3f1, v12
	v_add_nc_u32_e32 v12, 0xfffffc10, v12
	v_and_or_b32 v8, 0xffe, v11, v8
	v_med3_i32 v11, v13, 0, 13
	v_or_b32_e32 v13, 0x1000, v4
	v_med3_i32 v6, v6, 0, 13
	s_delay_alu instid0(VALU_DEP_4) | instskip(NEXT) | instid1(VALU_DEP_3)
	v_or_b32_e32 v14, 0x1000, v8
	v_lshrrev_b32_e32 v15, v11, v13
	s_delay_alu instid0(VALU_DEP_2) | instskip(NEXT) | instid1(VALU_DEP_2)
	v_lshrrev_b32_e32 v16, v6, v14
	v_lshlrev_b32_e32 v11, v11, v15
	s_delay_alu instid0(VALU_DEP_2) | instskip(NEXT) | instid1(VALU_DEP_2)
	v_lshlrev_b32_e32 v6, v6, v16
	v_cmp_ne_u32_e32 vcc_lo, v11, v13
	v_lshl_or_b32 v13, v10, 12, v4
	s_wait_alu 0xfffd
	v_cndmask_b32_e64 v11, 0, 1, vcc_lo
	v_cmp_ne_u32_e32 vcc_lo, v6, v14
	v_lshl_or_b32 v14, v12, 12, v8
	s_delay_alu instid0(VALU_DEP_3) | instskip(SKIP_3) | instid1(VALU_DEP_2)
	v_or_b32_e32 v11, v15, v11
	s_wait_alu 0xfffd
	v_cndmask_b32_e64 v6, 0, 1, vcc_lo
	v_cmp_gt_i32_e32 vcc_lo, 1, v10
	v_or_b32_e32 v6, v16, v6
	s_wait_alu 0xfffd
	v_cndmask_b32_e32 v11, v13, v11, vcc_lo
	v_cmp_gt_i32_e32 vcc_lo, 1, v12
	s_wait_alu 0xfffd
	s_delay_alu instid0(VALU_DEP_2) | instskip(SKIP_2) | instid1(VALU_DEP_3)
	v_dual_cndmask_b32 v6, v14, v6 :: v_dual_and_b32 v13, 7, v11
	v_cmp_ne_u32_e32 vcc_lo, 0, v4
	v_lshrrev_b32_e32 v11, 2, v11
	v_cmp_eq_u32_e64 s0, 3, v13
	s_delay_alu instid0(VALU_DEP_4)
	v_and_b32_e32 v14, 7, v6
	s_wait_alu 0xfffd
	v_cndmask_b32_e64 v4, 0, 1, vcc_lo
	v_cmp_ne_u32_e32 vcc_lo, 0, v8
	v_lshrrev_b32_e32 v6, 2, v6
	v_cmp_lt_i32_e64 s1, 5, v14
	v_cmp_eq_u32_e64 s2, 3, v14
	s_wait_alu 0xfffd
	v_cndmask_b32_e64 v8, 0, 1, vcc_lo
	v_cmp_lt_i32_e32 vcc_lo, 5, v13
	v_lshl_or_b32 v4, v4, 9, 0x7c00
	s_delay_alu instid0(VALU_DEP_3)
	v_lshl_or_b32 v8, v8, 9, 0x7c00
	s_or_b32 vcc_lo, s0, vcc_lo
	s_wait_alu 0xfffe
	v_add_co_ci_u32_e32 v11, vcc_lo, 0, v11, vcc_lo
	s_or_b32 vcc_lo, s2, s1
	s_wait_alu 0xfffe
	v_add_co_ci_u32_e32 v6, vcc_lo, 0, v6, vcc_lo
	v_cmp_gt_i32_e32 vcc_lo, 31, v10
	s_wait_alu 0xfffd
	v_cndmask_b32_e32 v11, 0x7c00, v11, vcc_lo
	v_cmp_gt_i32_e32 vcc_lo, 31, v12
	s_wait_alu 0xfffd
	v_cndmask_b32_e32 v6, 0x7c00, v6, vcc_lo
	v_cmp_eq_u32_e32 vcc_lo, 0x40f, v10
	s_wait_alu 0xfffd
	v_cndmask_b32_e32 v4, v11, v4, vcc_lo
	v_cmp_eq_u32_e32 vcc_lo, 0x40f, v12
	s_delay_alu instid0(VALU_DEP_2) | instskip(SKIP_3) | instid1(VALU_DEP_2)
	v_and_or_b32 v7, 0x8000, v7, v4
	s_wait_alu 0xfffd
	v_cndmask_b32_e32 v6, v6, v8, vcc_lo
	v_mad_co_u64_u32 v[3:4], null, s5, 56, v[3:4]
	v_and_or_b32 v4, 0x8000, v9, v6
	v_and_b32_e32 v6, 0xffff, v7
	s_delay_alu instid0(VALU_DEP_1)
	v_lshl_or_b32 v4, v4, 16, v6
	v_lshrrev_b32_e32 v6, 16, v5
	global_store_b32 v[2:3], v4, off
	global_load_b32 v4, v24, s[12:13] offset:280
	s_wait_loadcnt 0x0
	v_lshrrev_b32_e32 v7, 16, v4
	s_delay_alu instid0(VALU_DEP_1) | instskip(SKIP_1) | instid1(VALU_DEP_2)
	v_mul_f16_e32 v8, v6, v7
	v_mul_f16_e32 v7, v5, v7
	v_fmac_f16_e32 v8, v5, v4
	s_delay_alu instid0(VALU_DEP_2) | instskip(NEXT) | instid1(VALU_DEP_2)
	v_fma_f16 v4, v4, v6, -v7
	v_cvt_f32_f16_e32 v5, v8
	s_delay_alu instid0(VALU_DEP_2) | instskip(NEXT) | instid1(VALU_DEP_2)
	v_cvt_f32_f16_e32 v6, v4
	v_cvt_f64_f32_e32 v[4:5], v5
	s_delay_alu instid0(VALU_DEP_2) | instskip(NEXT) | instid1(VALU_DEP_2)
	v_cvt_f64_f32_e32 v[6:7], v6
	v_mul_f64_e32 v[4:5], s[8:9], v[4:5]
	s_delay_alu instid0(VALU_DEP_2) | instskip(NEXT) | instid1(VALU_DEP_2)
	v_mul_f64_e32 v[6:7], s[8:9], v[6:7]
	v_and_or_b32 v4, 0x1ff, v5, v4
	s_delay_alu instid0(VALU_DEP_2)
	v_and_or_b32 v6, 0x1ff, v7, v6
	v_lshrrev_b32_e32 v8, 8, v5
	v_bfe_u32 v9, v5, 20, 11
	v_lshrrev_b32_e32 v10, 8, v7
	v_cmp_ne_u32_e32 vcc_lo, 0, v4
	v_bfe_u32 v11, v7, 20, 11
	v_lshrrev_b32_e32 v5, 16, v5
	v_sub_nc_u32_e32 v12, 0x3f1, v9
	v_add_nc_u32_e32 v9, 0xfffffc10, v9
	s_wait_alu 0xfffd
	v_cndmask_b32_e64 v4, 0, 1, vcc_lo
	v_cmp_ne_u32_e32 vcc_lo, 0, v6
	v_lshrrev_b32_e32 v7, 16, v7
	s_delay_alu instid0(VALU_DEP_3) | instskip(SKIP_4) | instid1(VALU_DEP_3)
	v_and_or_b32 v4, 0xffe, v8, v4
	s_wait_alu 0xfffd
	v_cndmask_b32_e64 v6, 0, 1, vcc_lo
	v_sub_nc_u32_e32 v8, 0x3f1, v11
	v_add_nc_u32_e32 v11, 0xfffffc10, v11
	v_and_or_b32 v6, 0xffe, v10, v6
	v_med3_i32 v10, v12, 0, 13
	v_or_b32_e32 v12, 0x1000, v4
	v_med3_i32 v8, v8, 0, 13
	s_delay_alu instid0(VALU_DEP_4) | instskip(NEXT) | instid1(VALU_DEP_3)
	v_or_b32_e32 v13, 0x1000, v6
	v_lshrrev_b32_e32 v14, v10, v12
	s_delay_alu instid0(VALU_DEP_2) | instskip(NEXT) | instid1(VALU_DEP_2)
	v_lshrrev_b32_e32 v15, v8, v13
	v_lshlrev_b32_e32 v10, v10, v14
	s_delay_alu instid0(VALU_DEP_2) | instskip(NEXT) | instid1(VALU_DEP_2)
	v_lshlrev_b32_e32 v8, v8, v15
	v_cmp_ne_u32_e32 vcc_lo, v10, v12
	v_lshl_or_b32 v12, v9, 12, v4
	s_wait_alu 0xfffd
	v_cndmask_b32_e64 v10, 0, 1, vcc_lo
	v_cmp_ne_u32_e32 vcc_lo, v8, v13
	v_lshl_or_b32 v13, v11, 12, v6
	s_delay_alu instid0(VALU_DEP_3) | instskip(SKIP_3) | instid1(VALU_DEP_2)
	v_or_b32_e32 v10, v14, v10
	s_wait_alu 0xfffd
	v_cndmask_b32_e64 v8, 0, 1, vcc_lo
	v_cmp_gt_i32_e32 vcc_lo, 1, v9
	v_or_b32_e32 v8, v15, v8
	s_wait_alu 0xfffd
	v_cndmask_b32_e32 v10, v12, v10, vcc_lo
	v_cmp_gt_i32_e32 vcc_lo, 1, v11
	s_delay_alu instid0(VALU_DEP_2)
	v_and_b32_e32 v12, 7, v10
	s_wait_alu 0xfffd
	v_cndmask_b32_e32 v8, v13, v8, vcc_lo
	v_cmp_ne_u32_e32 vcc_lo, 0, v4
	v_lshrrev_b32_e32 v10, 2, v10
	v_cmp_eq_u32_e64 s0, 3, v12
	s_delay_alu instid0(VALU_DEP_4)
	v_and_b32_e32 v13, 7, v8
	s_wait_alu 0xfffd
	v_cndmask_b32_e64 v4, 0, 1, vcc_lo
	v_cmp_ne_u32_e32 vcc_lo, 0, v6
	v_lshrrev_b32_e32 v8, 2, v8
	v_cmp_lt_i32_e64 s1, 5, v13
	v_cmp_eq_u32_e64 s2, 3, v13
	s_wait_alu 0xfffd
	v_cndmask_b32_e64 v6, 0, 1, vcc_lo
	v_cmp_lt_i32_e32 vcc_lo, 5, v12
	v_lshl_or_b32 v4, v4, 9, 0x7c00
	s_delay_alu instid0(VALU_DEP_3)
	v_lshl_or_b32 v6, v6, 9, 0x7c00
	s_or_b32 vcc_lo, s0, vcc_lo
	s_wait_alu 0xfffe
	v_add_co_ci_u32_e32 v10, vcc_lo, 0, v10, vcc_lo
	s_or_b32 vcc_lo, s2, s1
	s_wait_alu 0xfffe
	v_add_co_ci_u32_e32 v8, vcc_lo, 0, v8, vcc_lo
	v_cmp_gt_i32_e32 vcc_lo, 31, v9
	s_wait_alu 0xfffd
	v_cndmask_b32_e32 v10, 0x7c00, v10, vcc_lo
	v_cmp_gt_i32_e32 vcc_lo, 31, v11
	s_wait_alu 0xfffd
	v_cndmask_b32_e32 v8, 0x7c00, v8, vcc_lo
	v_cmp_eq_u32_e32 vcc_lo, 0x40f, v9
	s_wait_alu 0xfffd
	v_cndmask_b32_e32 v4, v10, v4, vcc_lo
	v_cmp_eq_u32_e32 vcc_lo, 0x40f, v11
	s_delay_alu instid0(VALU_DEP_2)
	v_and_or_b32 v4, 0x8000, v5, v4
	s_wait_alu 0xfffd
	v_cndmask_b32_e32 v6, v8, v6, vcc_lo
	v_add_co_u32 v2, vcc_lo, v2, s6
	s_wait_alu 0xfffd
	v_add_co_ci_u32_e32 v3, vcc_lo, s7, v3, vcc_lo
	s_delay_alu instid0(VALU_DEP_3) | instskip(SKIP_1) | instid1(VALU_DEP_1)
	v_and_or_b32 v5, 0x8000, v7, v6
	v_and_b32_e32 v4, 0xffff, v4
	v_lshl_or_b32 v4, v5, 16, v4
	global_store_b32 v[2:3], v4, off
	global_load_b32 v6, v24, s[12:13] offset:308
	ds_load_2addr_b32 v[4:5], v21 offset0:77 offset1:84
	s_wait_dscnt 0x0
	v_lshrrev_b32_e32 v7, 16, v4
	s_wait_loadcnt 0x0
	v_lshrrev_b32_e32 v8, 16, v6
	s_delay_alu instid0(VALU_DEP_1) | instskip(SKIP_1) | instid1(VALU_DEP_2)
	v_mul_f16_e32 v9, v7, v8
	v_mul_f16_e32 v8, v4, v8
	v_fmac_f16_e32 v9, v4, v6
	s_delay_alu instid0(VALU_DEP_2) | instskip(NEXT) | instid1(VALU_DEP_2)
	v_fma_f16 v4, v6, v7, -v8
	v_cvt_f32_f16_e32 v6, v9
	s_delay_alu instid0(VALU_DEP_2) | instskip(NEXT) | instid1(VALU_DEP_2)
	v_cvt_f32_f16_e32 v4, v4
	v_cvt_f64_f32_e32 v[6:7], v6
	s_delay_alu instid0(VALU_DEP_2) | instskip(NEXT) | instid1(VALU_DEP_2)
	v_cvt_f64_f32_e32 v[8:9], v4
	v_mul_f64_e32 v[6:7], s[8:9], v[6:7]
	s_delay_alu instid0(VALU_DEP_2) | instskip(NEXT) | instid1(VALU_DEP_2)
	v_mul_f64_e32 v[8:9], s[8:9], v[8:9]
	v_and_or_b32 v4, 0x1ff, v7, v6
	s_delay_alu instid0(VALU_DEP_2)
	v_and_or_b32 v8, 0x1ff, v9, v8
	v_lshrrev_b32_e32 v6, 8, v7
	v_bfe_u32 v10, v7, 20, 11
	v_lshrrev_b32_e32 v11, 8, v9
	v_cmp_ne_u32_e32 vcc_lo, 0, v4
	v_bfe_u32 v12, v9, 20, 11
	v_lshrrev_b32_e32 v7, 16, v7
	v_sub_nc_u32_e32 v13, 0x3f1, v10
	v_add_nc_u32_e32 v10, 0xfffffc10, v10
	s_wait_alu 0xfffd
	v_cndmask_b32_e64 v4, 0, 1, vcc_lo
	v_cmp_ne_u32_e32 vcc_lo, 0, v8
	v_lshrrev_b32_e32 v9, 16, v9
	s_delay_alu instid0(VALU_DEP_3) | instskip(SKIP_4) | instid1(VALU_DEP_3)
	v_and_or_b32 v4, 0xffe, v6, v4
	s_wait_alu 0xfffd
	v_cndmask_b32_e64 v8, 0, 1, vcc_lo
	v_sub_nc_u32_e32 v6, 0x3f1, v12
	v_add_nc_u32_e32 v12, 0xfffffc10, v12
	v_and_or_b32 v8, 0xffe, v11, v8
	v_med3_i32 v11, v13, 0, 13
	v_or_b32_e32 v13, 0x1000, v4
	v_med3_i32 v6, v6, 0, 13
	s_delay_alu instid0(VALU_DEP_4) | instskip(NEXT) | instid1(VALU_DEP_3)
	v_or_b32_e32 v14, 0x1000, v8
	v_lshrrev_b32_e32 v15, v11, v13
	s_delay_alu instid0(VALU_DEP_2) | instskip(NEXT) | instid1(VALU_DEP_2)
	v_lshrrev_b32_e32 v16, v6, v14
	v_lshlrev_b32_e32 v11, v11, v15
	s_delay_alu instid0(VALU_DEP_2) | instskip(NEXT) | instid1(VALU_DEP_2)
	v_lshlrev_b32_e32 v6, v6, v16
	v_cmp_ne_u32_e32 vcc_lo, v11, v13
	v_lshl_or_b32 v13, v10, 12, v4
	s_wait_alu 0xfffd
	v_cndmask_b32_e64 v11, 0, 1, vcc_lo
	v_cmp_ne_u32_e32 vcc_lo, v6, v14
	v_lshl_or_b32 v14, v12, 12, v8
	s_delay_alu instid0(VALU_DEP_3) | instskip(SKIP_3) | instid1(VALU_DEP_2)
	v_or_b32_e32 v11, v15, v11
	s_wait_alu 0xfffd
	v_cndmask_b32_e64 v6, 0, 1, vcc_lo
	v_cmp_gt_i32_e32 vcc_lo, 1, v10
	v_or_b32_e32 v6, v16, v6
	s_wait_alu 0xfffd
	v_cndmask_b32_e32 v11, v13, v11, vcc_lo
	v_cmp_gt_i32_e32 vcc_lo, 1, v12
	s_wait_alu 0xfffd
	s_delay_alu instid0(VALU_DEP_2) | instskip(SKIP_2) | instid1(VALU_DEP_3)
	v_dual_cndmask_b32 v6, v14, v6 :: v_dual_and_b32 v13, 7, v11
	v_cmp_ne_u32_e32 vcc_lo, 0, v4
	v_lshrrev_b32_e32 v11, 2, v11
	v_cmp_eq_u32_e64 s0, 3, v13
	s_delay_alu instid0(VALU_DEP_4)
	v_and_b32_e32 v14, 7, v6
	s_wait_alu 0xfffd
	v_cndmask_b32_e64 v4, 0, 1, vcc_lo
	v_cmp_ne_u32_e32 vcc_lo, 0, v8
	v_lshrrev_b32_e32 v6, 2, v6
	v_cmp_lt_i32_e64 s1, 5, v14
	v_cmp_eq_u32_e64 s2, 3, v14
	s_wait_alu 0xfffd
	v_cndmask_b32_e64 v8, 0, 1, vcc_lo
	v_cmp_lt_i32_e32 vcc_lo, 5, v13
	v_lshl_or_b32 v4, v4, 9, 0x7c00
	s_delay_alu instid0(VALU_DEP_3)
	v_lshl_or_b32 v8, v8, 9, 0x7c00
	s_or_b32 vcc_lo, s0, vcc_lo
	s_wait_alu 0xfffe
	v_add_co_ci_u32_e32 v11, vcc_lo, 0, v11, vcc_lo
	s_or_b32 vcc_lo, s2, s1
	s_wait_alu 0xfffe
	v_add_co_ci_u32_e32 v6, vcc_lo, 0, v6, vcc_lo
	v_cmp_gt_i32_e32 vcc_lo, 31, v10
	s_wait_alu 0xfffd
	v_cndmask_b32_e32 v11, 0x7c00, v11, vcc_lo
	v_cmp_gt_i32_e32 vcc_lo, 31, v12
	s_wait_alu 0xfffd
	v_cndmask_b32_e32 v6, 0x7c00, v6, vcc_lo
	v_cmp_eq_u32_e32 vcc_lo, 0x40f, v10
	s_wait_alu 0xfffd
	v_cndmask_b32_e32 v4, v11, v4, vcc_lo
	v_cmp_eq_u32_e32 vcc_lo, 0x40f, v12
	s_delay_alu instid0(VALU_DEP_2)
	v_and_or_b32 v4, 0x8000, v7, v4
	s_wait_alu 0xfffd
	v_cndmask_b32_e32 v6, v6, v8, vcc_lo
	v_add_co_u32 v2, vcc_lo, v2, s6
	s_wait_alu 0xfffd
	v_add_co_ci_u32_e32 v3, vcc_lo, s7, v3, vcc_lo
	s_delay_alu instid0(VALU_DEP_3) | instskip(SKIP_1) | instid1(VALU_DEP_1)
	v_and_or_b32 v6, 0x8000, v9, v6
	v_and_b32_e32 v4, 0xffff, v4
	v_lshl_or_b32 v4, v6, 16, v4
	v_lshrrev_b32_e32 v6, 16, v5
	global_store_b32 v[2:3], v4, off
	global_load_b32 v4, v24, s[12:13] offset:336
	s_wait_loadcnt 0x0
	v_lshrrev_b32_e32 v7, 16, v4
	s_delay_alu instid0(VALU_DEP_1) | instskip(SKIP_1) | instid1(VALU_DEP_2)
	v_mul_f16_e32 v8, v6, v7
	v_mul_f16_e32 v7, v5, v7
	v_fmac_f16_e32 v8, v5, v4
	s_delay_alu instid0(VALU_DEP_2) | instskip(NEXT) | instid1(VALU_DEP_2)
	v_fma_f16 v4, v4, v6, -v7
	v_cvt_f32_f16_e32 v5, v8
	s_delay_alu instid0(VALU_DEP_2) | instskip(NEXT) | instid1(VALU_DEP_2)
	v_cvt_f32_f16_e32 v6, v4
	v_cvt_f64_f32_e32 v[4:5], v5
	s_delay_alu instid0(VALU_DEP_2) | instskip(NEXT) | instid1(VALU_DEP_2)
	v_cvt_f64_f32_e32 v[6:7], v6
	v_mul_f64_e32 v[4:5], s[8:9], v[4:5]
	s_delay_alu instid0(VALU_DEP_2) | instskip(NEXT) | instid1(VALU_DEP_2)
	v_mul_f64_e32 v[6:7], s[8:9], v[6:7]
	v_and_or_b32 v4, 0x1ff, v5, v4
	s_delay_alu instid0(VALU_DEP_2)
	v_and_or_b32 v6, 0x1ff, v7, v6
	v_lshrrev_b32_e32 v8, 8, v5
	v_bfe_u32 v9, v5, 20, 11
	v_lshrrev_b32_e32 v10, 8, v7
	v_cmp_ne_u32_e32 vcc_lo, 0, v4
	v_bfe_u32 v11, v7, 20, 11
	v_lshrrev_b32_e32 v5, 16, v5
	v_sub_nc_u32_e32 v12, 0x3f1, v9
	v_add_nc_u32_e32 v9, 0xfffffc10, v9
	s_wait_alu 0xfffd
	v_cndmask_b32_e64 v4, 0, 1, vcc_lo
	v_cmp_ne_u32_e32 vcc_lo, 0, v6
	v_lshrrev_b32_e32 v7, 16, v7
	s_delay_alu instid0(VALU_DEP_3) | instskip(SKIP_4) | instid1(VALU_DEP_3)
	v_and_or_b32 v4, 0xffe, v8, v4
	s_wait_alu 0xfffd
	v_cndmask_b32_e64 v6, 0, 1, vcc_lo
	v_sub_nc_u32_e32 v8, 0x3f1, v11
	v_add_nc_u32_e32 v11, 0xfffffc10, v11
	v_and_or_b32 v6, 0xffe, v10, v6
	v_med3_i32 v10, v12, 0, 13
	v_or_b32_e32 v12, 0x1000, v4
	v_med3_i32 v8, v8, 0, 13
	s_delay_alu instid0(VALU_DEP_4) | instskip(NEXT) | instid1(VALU_DEP_3)
	v_or_b32_e32 v13, 0x1000, v6
	v_lshrrev_b32_e32 v14, v10, v12
	s_delay_alu instid0(VALU_DEP_2) | instskip(NEXT) | instid1(VALU_DEP_2)
	v_lshrrev_b32_e32 v15, v8, v13
	v_lshlrev_b32_e32 v10, v10, v14
	s_delay_alu instid0(VALU_DEP_2) | instskip(NEXT) | instid1(VALU_DEP_2)
	v_lshlrev_b32_e32 v8, v8, v15
	v_cmp_ne_u32_e32 vcc_lo, v10, v12
	v_lshl_or_b32 v12, v9, 12, v4
	s_wait_alu 0xfffd
	v_cndmask_b32_e64 v10, 0, 1, vcc_lo
	v_cmp_ne_u32_e32 vcc_lo, v8, v13
	v_lshl_or_b32 v13, v11, 12, v6
	s_delay_alu instid0(VALU_DEP_3) | instskip(SKIP_3) | instid1(VALU_DEP_2)
	v_or_b32_e32 v10, v14, v10
	s_wait_alu 0xfffd
	v_cndmask_b32_e64 v8, 0, 1, vcc_lo
	v_cmp_gt_i32_e32 vcc_lo, 1, v9
	v_or_b32_e32 v8, v15, v8
	s_wait_alu 0xfffd
	v_cndmask_b32_e32 v10, v12, v10, vcc_lo
	v_cmp_gt_i32_e32 vcc_lo, 1, v11
	s_delay_alu instid0(VALU_DEP_2)
	v_and_b32_e32 v12, 7, v10
	s_wait_alu 0xfffd
	v_cndmask_b32_e32 v8, v13, v8, vcc_lo
	v_cmp_ne_u32_e32 vcc_lo, 0, v4
	v_lshrrev_b32_e32 v10, 2, v10
	v_cmp_eq_u32_e64 s0, 3, v12
	s_delay_alu instid0(VALU_DEP_4)
	v_and_b32_e32 v13, 7, v8
	s_wait_alu 0xfffd
	v_cndmask_b32_e64 v4, 0, 1, vcc_lo
	v_cmp_ne_u32_e32 vcc_lo, 0, v6
	v_lshrrev_b32_e32 v8, 2, v8
	v_cmp_lt_i32_e64 s1, 5, v13
	v_cmp_eq_u32_e64 s2, 3, v13
	s_wait_alu 0xfffd
	v_cndmask_b32_e64 v6, 0, 1, vcc_lo
	v_cmp_lt_i32_e32 vcc_lo, 5, v12
	v_lshl_or_b32 v4, v4, 9, 0x7c00
	s_delay_alu instid0(VALU_DEP_3)
	v_lshl_or_b32 v6, v6, 9, 0x7c00
	s_or_b32 vcc_lo, s0, vcc_lo
	s_wait_alu 0xfffe
	v_add_co_ci_u32_e32 v10, vcc_lo, 0, v10, vcc_lo
	s_or_b32 vcc_lo, s2, s1
	s_wait_alu 0xfffe
	v_add_co_ci_u32_e32 v8, vcc_lo, 0, v8, vcc_lo
	v_cmp_gt_i32_e32 vcc_lo, 31, v9
	s_wait_alu 0xfffd
	v_cndmask_b32_e32 v10, 0x7c00, v10, vcc_lo
	v_cmp_gt_i32_e32 vcc_lo, 31, v11
	s_wait_alu 0xfffd
	v_cndmask_b32_e32 v8, 0x7c00, v8, vcc_lo
	v_cmp_eq_u32_e32 vcc_lo, 0x40f, v9
	s_wait_alu 0xfffd
	v_cndmask_b32_e32 v4, v10, v4, vcc_lo
	v_cmp_eq_u32_e32 vcc_lo, 0x40f, v11
	s_delay_alu instid0(VALU_DEP_2)
	v_and_or_b32 v4, 0x8000, v5, v4
	s_wait_alu 0xfffd
	v_cndmask_b32_e32 v6, v8, v6, vcc_lo
	v_add_co_u32 v2, vcc_lo, v2, s6
	s_wait_alu 0xfffd
	v_add_co_ci_u32_e32 v3, vcc_lo, s7, v3, vcc_lo
	s_delay_alu instid0(VALU_DEP_3) | instskip(SKIP_1) | instid1(VALU_DEP_1)
	v_and_or_b32 v5, 0x8000, v7, v6
	v_and_b32_e32 v4, 0xffff, v4
	v_lshl_or_b32 v4, v5, 16, v4
	global_store_b32 v[2:3], v4, off
	global_load_b32 v6, v24, s[12:13] offset:364
	ds_load_2addr_b32 v[4:5], v21 offset0:91 offset1:98
	s_wait_dscnt 0x0
	v_lshrrev_b32_e32 v7, 16, v4
	s_wait_loadcnt 0x0
	v_lshrrev_b32_e32 v8, 16, v6
	s_delay_alu instid0(VALU_DEP_1) | instskip(SKIP_1) | instid1(VALU_DEP_2)
	v_mul_f16_e32 v9, v7, v8
	v_mul_f16_e32 v8, v4, v8
	v_fmac_f16_e32 v9, v4, v6
	s_delay_alu instid0(VALU_DEP_2) | instskip(NEXT) | instid1(VALU_DEP_2)
	v_fma_f16 v4, v6, v7, -v8
	v_cvt_f32_f16_e32 v6, v9
	s_delay_alu instid0(VALU_DEP_2) | instskip(NEXT) | instid1(VALU_DEP_2)
	v_cvt_f32_f16_e32 v4, v4
	v_cvt_f64_f32_e32 v[6:7], v6
	s_delay_alu instid0(VALU_DEP_2) | instskip(NEXT) | instid1(VALU_DEP_2)
	v_cvt_f64_f32_e32 v[8:9], v4
	v_mul_f64_e32 v[6:7], s[8:9], v[6:7]
	s_delay_alu instid0(VALU_DEP_2) | instskip(NEXT) | instid1(VALU_DEP_2)
	v_mul_f64_e32 v[8:9], s[8:9], v[8:9]
	v_and_or_b32 v4, 0x1ff, v7, v6
	s_delay_alu instid0(VALU_DEP_2)
	v_and_or_b32 v8, 0x1ff, v9, v8
	v_lshrrev_b32_e32 v6, 8, v7
	v_bfe_u32 v10, v7, 20, 11
	v_lshrrev_b32_e32 v11, 8, v9
	v_cmp_ne_u32_e32 vcc_lo, 0, v4
	v_bfe_u32 v12, v9, 20, 11
	v_lshrrev_b32_e32 v7, 16, v7
	v_sub_nc_u32_e32 v13, 0x3f1, v10
	v_add_nc_u32_e32 v10, 0xfffffc10, v10
	s_wait_alu 0xfffd
	v_cndmask_b32_e64 v4, 0, 1, vcc_lo
	v_cmp_ne_u32_e32 vcc_lo, 0, v8
	v_lshrrev_b32_e32 v9, 16, v9
	s_delay_alu instid0(VALU_DEP_3) | instskip(SKIP_4) | instid1(VALU_DEP_3)
	v_and_or_b32 v4, 0xffe, v6, v4
	s_wait_alu 0xfffd
	v_cndmask_b32_e64 v8, 0, 1, vcc_lo
	v_sub_nc_u32_e32 v6, 0x3f1, v12
	v_add_nc_u32_e32 v12, 0xfffffc10, v12
	v_and_or_b32 v8, 0xffe, v11, v8
	v_med3_i32 v11, v13, 0, 13
	v_or_b32_e32 v13, 0x1000, v4
	v_med3_i32 v6, v6, 0, 13
	s_delay_alu instid0(VALU_DEP_4) | instskip(NEXT) | instid1(VALU_DEP_3)
	v_or_b32_e32 v14, 0x1000, v8
	v_lshrrev_b32_e32 v15, v11, v13
	s_delay_alu instid0(VALU_DEP_2) | instskip(NEXT) | instid1(VALU_DEP_2)
	v_lshrrev_b32_e32 v16, v6, v14
	v_lshlrev_b32_e32 v11, v11, v15
	s_delay_alu instid0(VALU_DEP_2) | instskip(NEXT) | instid1(VALU_DEP_2)
	v_lshlrev_b32_e32 v6, v6, v16
	v_cmp_ne_u32_e32 vcc_lo, v11, v13
	v_lshl_or_b32 v13, v10, 12, v4
	s_wait_alu 0xfffd
	v_cndmask_b32_e64 v11, 0, 1, vcc_lo
	v_cmp_ne_u32_e32 vcc_lo, v6, v14
	v_lshl_or_b32 v14, v12, 12, v8
	s_delay_alu instid0(VALU_DEP_3) | instskip(SKIP_3) | instid1(VALU_DEP_2)
	v_or_b32_e32 v11, v15, v11
	s_wait_alu 0xfffd
	v_cndmask_b32_e64 v6, 0, 1, vcc_lo
	v_cmp_gt_i32_e32 vcc_lo, 1, v10
	v_or_b32_e32 v6, v16, v6
	s_wait_alu 0xfffd
	v_cndmask_b32_e32 v11, v13, v11, vcc_lo
	v_cmp_gt_i32_e32 vcc_lo, 1, v12
	s_wait_alu 0xfffd
	s_delay_alu instid0(VALU_DEP_2) | instskip(SKIP_2) | instid1(VALU_DEP_3)
	v_dual_cndmask_b32 v6, v14, v6 :: v_dual_and_b32 v13, 7, v11
	v_cmp_ne_u32_e32 vcc_lo, 0, v4
	v_lshrrev_b32_e32 v11, 2, v11
	v_cmp_eq_u32_e64 s0, 3, v13
	s_delay_alu instid0(VALU_DEP_4)
	v_and_b32_e32 v14, 7, v6
	s_wait_alu 0xfffd
	v_cndmask_b32_e64 v4, 0, 1, vcc_lo
	v_cmp_ne_u32_e32 vcc_lo, 0, v8
	v_lshrrev_b32_e32 v6, 2, v6
	v_cmp_lt_i32_e64 s1, 5, v14
	v_cmp_eq_u32_e64 s2, 3, v14
	s_wait_alu 0xfffd
	v_cndmask_b32_e64 v8, 0, 1, vcc_lo
	v_cmp_lt_i32_e32 vcc_lo, 5, v13
	v_lshl_or_b32 v4, v4, 9, 0x7c00
	s_delay_alu instid0(VALU_DEP_3)
	v_lshl_or_b32 v8, v8, 9, 0x7c00
	s_or_b32 vcc_lo, s0, vcc_lo
	s_wait_alu 0xfffe
	v_add_co_ci_u32_e32 v11, vcc_lo, 0, v11, vcc_lo
	s_or_b32 vcc_lo, s2, s1
	s_wait_alu 0xfffe
	v_add_co_ci_u32_e32 v6, vcc_lo, 0, v6, vcc_lo
	v_cmp_gt_i32_e32 vcc_lo, 31, v10
	s_wait_alu 0xfffd
	v_cndmask_b32_e32 v11, 0x7c00, v11, vcc_lo
	v_cmp_gt_i32_e32 vcc_lo, 31, v12
	s_wait_alu 0xfffd
	v_cndmask_b32_e32 v6, 0x7c00, v6, vcc_lo
	v_cmp_eq_u32_e32 vcc_lo, 0x40f, v10
	s_wait_alu 0xfffd
	v_cndmask_b32_e32 v4, v11, v4, vcc_lo
	v_cmp_eq_u32_e32 vcc_lo, 0x40f, v12
	s_delay_alu instid0(VALU_DEP_2)
	v_and_or_b32 v4, 0x8000, v7, v4
	s_wait_alu 0xfffd
	v_cndmask_b32_e32 v6, v6, v8, vcc_lo
	v_add_co_u32 v2, vcc_lo, v2, s6
	s_wait_alu 0xfffd
	v_add_co_ci_u32_e32 v3, vcc_lo, s7, v3, vcc_lo
	s_delay_alu instid0(VALU_DEP_3) | instskip(SKIP_1) | instid1(VALU_DEP_1)
	v_and_or_b32 v6, 0x8000, v9, v6
	v_and_b32_e32 v4, 0xffff, v4
	v_lshl_or_b32 v4, v6, 16, v4
	v_lshrrev_b32_e32 v6, 16, v5
	global_store_b32 v[2:3], v4, off
	global_load_b32 v4, v24, s[12:13] offset:392
	s_wait_loadcnt 0x0
	v_lshrrev_b32_e32 v7, 16, v4
	s_delay_alu instid0(VALU_DEP_1) | instskip(SKIP_1) | instid1(VALU_DEP_2)
	v_mul_f16_e32 v8, v6, v7
	v_mul_f16_e32 v7, v5, v7
	v_fmac_f16_e32 v8, v5, v4
	s_delay_alu instid0(VALU_DEP_2) | instskip(NEXT) | instid1(VALU_DEP_2)
	v_fma_f16 v4, v4, v6, -v7
	v_cvt_f32_f16_e32 v5, v8
	s_delay_alu instid0(VALU_DEP_2) | instskip(NEXT) | instid1(VALU_DEP_2)
	v_cvt_f32_f16_e32 v6, v4
	v_cvt_f64_f32_e32 v[4:5], v5
	s_delay_alu instid0(VALU_DEP_2) | instskip(NEXT) | instid1(VALU_DEP_2)
	v_cvt_f64_f32_e32 v[6:7], v6
	v_mul_f64_e32 v[4:5], s[8:9], v[4:5]
	s_delay_alu instid0(VALU_DEP_2) | instskip(NEXT) | instid1(VALU_DEP_2)
	v_mul_f64_e32 v[6:7], s[8:9], v[6:7]
	v_and_or_b32 v4, 0x1ff, v5, v4
	s_delay_alu instid0(VALU_DEP_2)
	v_and_or_b32 v6, 0x1ff, v7, v6
	v_lshrrev_b32_e32 v8, 8, v5
	v_bfe_u32 v9, v5, 20, 11
	v_lshrrev_b32_e32 v10, 8, v7
	v_cmp_ne_u32_e32 vcc_lo, 0, v4
	v_bfe_u32 v11, v7, 20, 11
	v_lshrrev_b32_e32 v5, 16, v5
	v_sub_nc_u32_e32 v12, 0x3f1, v9
	v_add_nc_u32_e32 v9, 0xfffffc10, v9
	s_wait_alu 0xfffd
	v_cndmask_b32_e64 v4, 0, 1, vcc_lo
	v_cmp_ne_u32_e32 vcc_lo, 0, v6
	v_lshrrev_b32_e32 v7, 16, v7
	s_delay_alu instid0(VALU_DEP_3) | instskip(SKIP_4) | instid1(VALU_DEP_3)
	v_and_or_b32 v4, 0xffe, v8, v4
	s_wait_alu 0xfffd
	v_cndmask_b32_e64 v6, 0, 1, vcc_lo
	v_sub_nc_u32_e32 v8, 0x3f1, v11
	v_add_nc_u32_e32 v11, 0xfffffc10, v11
	v_and_or_b32 v6, 0xffe, v10, v6
	v_med3_i32 v10, v12, 0, 13
	v_or_b32_e32 v12, 0x1000, v4
	v_med3_i32 v8, v8, 0, 13
	s_delay_alu instid0(VALU_DEP_4) | instskip(NEXT) | instid1(VALU_DEP_3)
	v_or_b32_e32 v13, 0x1000, v6
	v_lshrrev_b32_e32 v14, v10, v12
	s_delay_alu instid0(VALU_DEP_2) | instskip(NEXT) | instid1(VALU_DEP_2)
	v_lshrrev_b32_e32 v15, v8, v13
	v_lshlrev_b32_e32 v10, v10, v14
	s_delay_alu instid0(VALU_DEP_2) | instskip(NEXT) | instid1(VALU_DEP_2)
	v_lshlrev_b32_e32 v8, v8, v15
	v_cmp_ne_u32_e32 vcc_lo, v10, v12
	v_lshl_or_b32 v12, v9, 12, v4
	s_wait_alu 0xfffd
	v_cndmask_b32_e64 v10, 0, 1, vcc_lo
	v_cmp_ne_u32_e32 vcc_lo, v8, v13
	v_lshl_or_b32 v13, v11, 12, v6
	s_delay_alu instid0(VALU_DEP_3) | instskip(SKIP_3) | instid1(VALU_DEP_2)
	v_or_b32_e32 v10, v14, v10
	s_wait_alu 0xfffd
	v_cndmask_b32_e64 v8, 0, 1, vcc_lo
	v_cmp_gt_i32_e32 vcc_lo, 1, v9
	v_or_b32_e32 v8, v15, v8
	s_wait_alu 0xfffd
	v_cndmask_b32_e32 v10, v12, v10, vcc_lo
	v_cmp_gt_i32_e32 vcc_lo, 1, v11
	s_delay_alu instid0(VALU_DEP_2)
	v_and_b32_e32 v12, 7, v10
	s_wait_alu 0xfffd
	v_cndmask_b32_e32 v8, v13, v8, vcc_lo
	v_cmp_ne_u32_e32 vcc_lo, 0, v4
	v_lshrrev_b32_e32 v10, 2, v10
	v_cmp_eq_u32_e64 s0, 3, v12
	s_delay_alu instid0(VALU_DEP_4)
	v_and_b32_e32 v13, 7, v8
	s_wait_alu 0xfffd
	v_cndmask_b32_e64 v4, 0, 1, vcc_lo
	v_cmp_ne_u32_e32 vcc_lo, 0, v6
	v_lshrrev_b32_e32 v8, 2, v8
	v_cmp_lt_i32_e64 s1, 5, v13
	v_cmp_eq_u32_e64 s2, 3, v13
	s_wait_alu 0xfffd
	v_cndmask_b32_e64 v6, 0, 1, vcc_lo
	v_cmp_lt_i32_e32 vcc_lo, 5, v12
	v_lshl_or_b32 v4, v4, 9, 0x7c00
	s_delay_alu instid0(VALU_DEP_3)
	v_lshl_or_b32 v6, v6, 9, 0x7c00
	s_or_b32 vcc_lo, s0, vcc_lo
	s_wait_alu 0xfffe
	v_add_co_ci_u32_e32 v10, vcc_lo, 0, v10, vcc_lo
	s_or_b32 vcc_lo, s2, s1
	s_wait_alu 0xfffe
	v_add_co_ci_u32_e32 v8, vcc_lo, 0, v8, vcc_lo
	v_cmp_gt_i32_e32 vcc_lo, 31, v9
	s_wait_alu 0xfffd
	v_cndmask_b32_e32 v10, 0x7c00, v10, vcc_lo
	v_cmp_gt_i32_e32 vcc_lo, 31, v11
	s_wait_alu 0xfffd
	v_cndmask_b32_e32 v8, 0x7c00, v8, vcc_lo
	v_cmp_eq_u32_e32 vcc_lo, 0x40f, v9
	s_wait_alu 0xfffd
	v_cndmask_b32_e32 v4, v10, v4, vcc_lo
	v_cmp_eq_u32_e32 vcc_lo, 0x40f, v11
	s_delay_alu instid0(VALU_DEP_2)
	v_and_or_b32 v4, 0x8000, v5, v4
	s_wait_alu 0xfffd
	v_cndmask_b32_e32 v6, v8, v6, vcc_lo
	v_add_co_u32 v2, vcc_lo, v2, s6
	s_wait_alu 0xfffd
	v_add_co_ci_u32_e32 v3, vcc_lo, s7, v3, vcc_lo
	s_delay_alu instid0(VALU_DEP_3) | instskip(SKIP_1) | instid1(VALU_DEP_1)
	v_and_or_b32 v5, 0x8000, v7, v6
	v_and_b32_e32 v4, 0xffff, v4
	v_lshl_or_b32 v4, v5, 16, v4
	global_store_b32 v[2:3], v4, off
	global_load_b32 v6, v24, s[12:13] offset:420
	ds_load_2addr_b32 v[4:5], v21 offset0:105 offset1:112
	s_wait_dscnt 0x0
	v_lshrrev_b32_e32 v7, 16, v4
	s_wait_loadcnt 0x0
	v_lshrrev_b32_e32 v8, 16, v6
	s_delay_alu instid0(VALU_DEP_1) | instskip(SKIP_1) | instid1(VALU_DEP_2)
	v_mul_f16_e32 v9, v7, v8
	v_mul_f16_e32 v8, v4, v8
	v_fmac_f16_e32 v9, v4, v6
	s_delay_alu instid0(VALU_DEP_2) | instskip(NEXT) | instid1(VALU_DEP_2)
	v_fma_f16 v4, v6, v7, -v8
	v_cvt_f32_f16_e32 v6, v9
	s_delay_alu instid0(VALU_DEP_2) | instskip(NEXT) | instid1(VALU_DEP_2)
	v_cvt_f32_f16_e32 v4, v4
	v_cvt_f64_f32_e32 v[6:7], v6
	s_delay_alu instid0(VALU_DEP_2) | instskip(NEXT) | instid1(VALU_DEP_2)
	v_cvt_f64_f32_e32 v[8:9], v4
	v_mul_f64_e32 v[6:7], s[8:9], v[6:7]
	s_delay_alu instid0(VALU_DEP_2) | instskip(NEXT) | instid1(VALU_DEP_2)
	v_mul_f64_e32 v[8:9], s[8:9], v[8:9]
	v_and_or_b32 v4, 0x1ff, v7, v6
	s_delay_alu instid0(VALU_DEP_2)
	v_and_or_b32 v8, 0x1ff, v9, v8
	v_lshrrev_b32_e32 v6, 8, v7
	v_bfe_u32 v10, v7, 20, 11
	v_lshrrev_b32_e32 v11, 8, v9
	v_cmp_ne_u32_e32 vcc_lo, 0, v4
	v_bfe_u32 v12, v9, 20, 11
	v_lshrrev_b32_e32 v7, 16, v7
	v_sub_nc_u32_e32 v13, 0x3f1, v10
	v_add_nc_u32_e32 v10, 0xfffffc10, v10
	s_wait_alu 0xfffd
	v_cndmask_b32_e64 v4, 0, 1, vcc_lo
	v_cmp_ne_u32_e32 vcc_lo, 0, v8
	v_lshrrev_b32_e32 v9, 16, v9
	s_delay_alu instid0(VALU_DEP_3) | instskip(SKIP_4) | instid1(VALU_DEP_3)
	v_and_or_b32 v4, 0xffe, v6, v4
	s_wait_alu 0xfffd
	v_cndmask_b32_e64 v8, 0, 1, vcc_lo
	v_sub_nc_u32_e32 v6, 0x3f1, v12
	v_add_nc_u32_e32 v12, 0xfffffc10, v12
	v_and_or_b32 v8, 0xffe, v11, v8
	v_med3_i32 v11, v13, 0, 13
	v_or_b32_e32 v13, 0x1000, v4
	v_med3_i32 v6, v6, 0, 13
	s_delay_alu instid0(VALU_DEP_4) | instskip(NEXT) | instid1(VALU_DEP_3)
	v_or_b32_e32 v14, 0x1000, v8
	v_lshrrev_b32_e32 v15, v11, v13
	s_delay_alu instid0(VALU_DEP_2) | instskip(NEXT) | instid1(VALU_DEP_2)
	v_lshrrev_b32_e32 v16, v6, v14
	v_lshlrev_b32_e32 v11, v11, v15
	s_delay_alu instid0(VALU_DEP_2) | instskip(NEXT) | instid1(VALU_DEP_2)
	v_lshlrev_b32_e32 v6, v6, v16
	v_cmp_ne_u32_e32 vcc_lo, v11, v13
	v_lshl_or_b32 v13, v10, 12, v4
	s_wait_alu 0xfffd
	v_cndmask_b32_e64 v11, 0, 1, vcc_lo
	v_cmp_ne_u32_e32 vcc_lo, v6, v14
	v_lshl_or_b32 v14, v12, 12, v8
	s_delay_alu instid0(VALU_DEP_3) | instskip(SKIP_3) | instid1(VALU_DEP_2)
	v_or_b32_e32 v11, v15, v11
	s_wait_alu 0xfffd
	v_cndmask_b32_e64 v6, 0, 1, vcc_lo
	v_cmp_gt_i32_e32 vcc_lo, 1, v10
	v_or_b32_e32 v6, v16, v6
	s_wait_alu 0xfffd
	v_cndmask_b32_e32 v11, v13, v11, vcc_lo
	v_cmp_gt_i32_e32 vcc_lo, 1, v12
	s_wait_alu 0xfffd
	s_delay_alu instid0(VALU_DEP_2) | instskip(SKIP_2) | instid1(VALU_DEP_3)
	v_dual_cndmask_b32 v6, v14, v6 :: v_dual_and_b32 v13, 7, v11
	v_cmp_ne_u32_e32 vcc_lo, 0, v4
	v_lshrrev_b32_e32 v11, 2, v11
	v_cmp_eq_u32_e64 s0, 3, v13
	s_delay_alu instid0(VALU_DEP_4)
	v_and_b32_e32 v14, 7, v6
	s_wait_alu 0xfffd
	v_cndmask_b32_e64 v4, 0, 1, vcc_lo
	v_cmp_ne_u32_e32 vcc_lo, 0, v8
	v_lshrrev_b32_e32 v6, 2, v6
	v_cmp_lt_i32_e64 s1, 5, v14
	v_cmp_eq_u32_e64 s2, 3, v14
	s_wait_alu 0xfffd
	v_cndmask_b32_e64 v8, 0, 1, vcc_lo
	v_cmp_lt_i32_e32 vcc_lo, 5, v13
	v_lshl_or_b32 v4, v4, 9, 0x7c00
	s_delay_alu instid0(VALU_DEP_3)
	v_lshl_or_b32 v8, v8, 9, 0x7c00
	s_or_b32 vcc_lo, s0, vcc_lo
	s_wait_alu 0xfffe
	v_add_co_ci_u32_e32 v11, vcc_lo, 0, v11, vcc_lo
	s_or_b32 vcc_lo, s2, s1
	s_wait_alu 0xfffe
	v_add_co_ci_u32_e32 v6, vcc_lo, 0, v6, vcc_lo
	v_cmp_gt_i32_e32 vcc_lo, 31, v10
	s_wait_alu 0xfffd
	v_cndmask_b32_e32 v11, 0x7c00, v11, vcc_lo
	v_cmp_gt_i32_e32 vcc_lo, 31, v12
	s_wait_alu 0xfffd
	v_cndmask_b32_e32 v6, 0x7c00, v6, vcc_lo
	v_cmp_eq_u32_e32 vcc_lo, 0x40f, v10
	s_wait_alu 0xfffd
	v_cndmask_b32_e32 v4, v11, v4, vcc_lo
	v_cmp_eq_u32_e32 vcc_lo, 0x40f, v12
	s_delay_alu instid0(VALU_DEP_2)
	v_and_or_b32 v4, 0x8000, v7, v4
	s_wait_alu 0xfffd
	v_cndmask_b32_e32 v6, v6, v8, vcc_lo
	v_add_co_u32 v2, vcc_lo, v2, s6
	s_wait_alu 0xfffd
	v_add_co_ci_u32_e32 v3, vcc_lo, s7, v3, vcc_lo
	s_delay_alu instid0(VALU_DEP_3) | instskip(SKIP_1) | instid1(VALU_DEP_1)
	v_and_or_b32 v6, 0x8000, v9, v6
	v_and_b32_e32 v4, 0xffff, v4
	v_lshl_or_b32 v4, v6, 16, v4
	global_store_b32 v[2:3], v4, off
	global_load_b32 v2, v24, s[12:13] offset:448
	v_lshrrev_b32_e32 v3, 16, v5
	s_wait_loadcnt 0x0
	v_lshrrev_b32_e32 v4, 16, v2
	s_delay_alu instid0(VALU_DEP_1) | instskip(SKIP_1) | instid1(VALU_DEP_2)
	v_mul_f16_e32 v6, v3, v4
	v_mul_f16_e32 v4, v5, v4
	v_fmac_f16_e32 v6, v5, v2
	s_delay_alu instid0(VALU_DEP_2) | instskip(NEXT) | instid1(VALU_DEP_2)
	v_fma_f16 v2, v2, v3, -v4
	v_cvt_f32_f16_e32 v3, v6
	s_delay_alu instid0(VALU_DEP_2) | instskip(NEXT) | instid1(VALU_DEP_2)
	v_cvt_f32_f16_e32 v4, v2
	v_cvt_f64_f32_e32 v[2:3], v3
	s_delay_alu instid0(VALU_DEP_2) | instskip(NEXT) | instid1(VALU_DEP_2)
	v_cvt_f64_f32_e32 v[4:5], v4
	v_mul_f64_e32 v[2:3], s[8:9], v[2:3]
	s_delay_alu instid0(VALU_DEP_2) | instskip(NEXT) | instid1(VALU_DEP_2)
	v_mul_f64_e32 v[4:5], s[8:9], v[4:5]
	v_and_or_b32 v2, 0x1ff, v3, v2
	s_delay_alu instid0(VALU_DEP_2)
	v_and_or_b32 v4, 0x1ff, v5, v4
	v_lshrrev_b32_e32 v6, 8, v3
	v_bfe_u32 v8, v3, 20, 11
	v_bfe_u32 v9, v5, 20, 11
	v_cmp_ne_u32_e32 vcc_lo, 0, v2
	v_lshrrev_b32_e32 v7, 8, v5
	v_lshrrev_b32_e32 v5, 16, v5
	v_sub_nc_u32_e32 v10, 0x3f1, v8
	v_sub_nc_u32_e32 v11, 0x3f1, v9
	s_wait_alu 0xfffd
	v_cndmask_b32_e64 v2, 0, 1, vcc_lo
	v_cmp_ne_u32_e32 vcc_lo, 0, v4
	v_add_nc_u32_e32 v9, 0xfffffc10, v9
	s_delay_alu instid0(VALU_DEP_3)
	v_and_or_b32 v12, 0xffe, v6, v2
	s_wait_alu 0xfffd
	v_cndmask_b32_e64 v4, 0, 1, vcc_lo
	v_med3_i32 v2, v10, 0, 13
	v_med3_i32 v10, v11, 0, 13
	v_or_b32_e32 v11, 0x1000, v12
	s_delay_alu instid0(VALU_DEP_4) | instskip(SKIP_1) | instid1(VALU_DEP_3)
	v_and_or_b32 v4, 0xffe, v7, v4
	v_mad_co_u64_u32 v[6:7], null, s4, v23, 0
	v_lshrrev_b32_e32 v14, v2, v11
	s_delay_alu instid0(VALU_DEP_3) | instskip(NEXT) | instid1(VALU_DEP_2)
	v_or_b32_e32 v13, 0x1000, v4
	v_lshlrev_b32_e32 v16, v2, v14
	s_delay_alu instid0(VALU_DEP_2) | instskip(SKIP_1) | instid1(VALU_DEP_3)
	v_lshrrev_b32_e32 v15, v10, v13
	v_mov_b32_e32 v2, v7
	v_cmp_ne_u32_e32 vcc_lo, v16, v11
	s_delay_alu instid0(VALU_DEP_3) | instskip(SKIP_3) | instid1(VALU_DEP_3)
	v_lshlrev_b32_e32 v7, v10, v15
	v_add_nc_u32_e32 v10, 0xfffffc10, v8
	s_wait_alu 0xfffd
	v_cndmask_b32_e64 v11, 0, 1, vcc_lo
	v_cmp_ne_u32_e32 vcc_lo, v7, v13
	v_mad_co_u64_u32 v[7:8], null, s5, v23, v[2:3]
	v_lshl_or_b32 v2, v10, 12, v12
	s_delay_alu instid0(VALU_DEP_4)
	v_or_b32_e32 v8, v14, v11
	s_wait_alu 0xfffd
	v_cndmask_b32_e64 v13, 0, 1, vcc_lo
	v_cmp_gt_i32_e32 vcc_lo, 1, v10
	v_lshl_or_b32 v11, v9, 12, v4
	v_lshrrev_b32_e32 v3, 16, v3
	s_delay_alu instid0(VALU_DEP_4)
	v_or_b32_e32 v13, v15, v13
	s_wait_alu 0xfffd
	v_cndmask_b32_e32 v2, v2, v8, vcc_lo
	v_cmp_gt_i32_e32 vcc_lo, 1, v9
	s_wait_alu 0xfffd
	v_cndmask_b32_e32 v8, v11, v13, vcc_lo
	v_cmp_ne_u32_e32 vcc_lo, 0, v12
	v_and_b32_e32 v12, 7, v2
	v_lshrrev_b32_e32 v2, 2, v2
	s_delay_alu instid0(VALU_DEP_4)
	v_and_b32_e32 v13, 7, v8
	s_wait_alu 0xfffd
	v_cndmask_b32_e64 v11, 0, 1, vcc_lo
	v_cmp_ne_u32_e32 vcc_lo, 0, v4
	v_cmp_eq_u32_e64 s0, 3, v12
	v_lshrrev_b32_e32 v8, 2, v8
	v_cmp_lt_i32_e64 s1, 5, v13
	v_cmp_eq_u32_e64 s2, 3, v13
	s_wait_alu 0xfffd
	v_cndmask_b32_e64 v4, 0, 1, vcc_lo
	v_cmp_lt_i32_e32 vcc_lo, 5, v12
	v_lshl_or_b32 v11, v11, 9, 0x7c00
	s_delay_alu instid0(VALU_DEP_3)
	v_lshl_or_b32 v4, v4, 9, 0x7c00
	s_or_b32 vcc_lo, s0, vcc_lo
	s_wait_alu 0xfffe
	v_add_co_ci_u32_e32 v2, vcc_lo, 0, v2, vcc_lo
	s_or_b32 vcc_lo, s2, s1
	s_wait_alu 0xfffe
	v_add_co_ci_u32_e32 v8, vcc_lo, 0, v8, vcc_lo
	v_cmp_gt_i32_e32 vcc_lo, 31, v10
	s_wait_alu 0xfffd
	v_cndmask_b32_e32 v2, 0x7c00, v2, vcc_lo
	v_cmp_gt_i32_e32 vcc_lo, 31, v9
	s_wait_alu 0xfffd
	v_cndmask_b32_e32 v8, 0x7c00, v8, vcc_lo
	v_cmp_eq_u32_e32 vcc_lo, 0x40f, v10
	s_wait_alu 0xfffd
	v_cndmask_b32_e32 v2, v2, v11, vcc_lo
	v_cmp_eq_u32_e32 vcc_lo, 0x40f, v9
	s_delay_alu instid0(VALU_DEP_2) | instskip(SKIP_2) | instid1(VALU_DEP_1)
	v_and_or_b32 v2, 0x8000, v3, v2
	s_wait_alu 0xfffd
	v_cndmask_b32_e32 v4, v8, v4, vcc_lo
	v_and_or_b32 v4, 0x8000, v5, v4
	s_delay_alu instid0(VALU_DEP_3) | instskip(SKIP_1) | instid1(VALU_DEP_2)
	v_and_b32_e32 v5, 0xffff, v2
	v_lshlrev_b64_e32 v[2:3], 2, v[6:7]
	v_lshl_or_b32 v4, v4, 16, v5
	s_delay_alu instid0(VALU_DEP_2) | instskip(SKIP_1) | instid1(VALU_DEP_3)
	v_add_co_u32 v0, vcc_lo, v0, v2
	s_wait_alu 0xfffd
	v_add_co_ci_u32_e32 v1, vcc_lo, v1, v3, vcc_lo
	global_store_b32 v[0:1], v4, off
.LBB0_15:
	s_nop 0
	s_sendmsg sendmsg(MSG_DEALLOC_VGPRS)
	s_endpgm
	.section	.rodata,"a",@progbits
	.p2align	6, 0x0
	.amdhsa_kernel bluestein_single_fwd_len119_dim1_half_op_CI_CI
		.amdhsa_group_segment_fixed_size 7140
		.amdhsa_private_segment_fixed_size 0
		.amdhsa_kernarg_size 104
		.amdhsa_user_sgpr_count 2
		.amdhsa_user_sgpr_dispatch_ptr 0
		.amdhsa_user_sgpr_queue_ptr 0
		.amdhsa_user_sgpr_kernarg_segment_ptr 1
		.amdhsa_user_sgpr_dispatch_id 0
		.amdhsa_user_sgpr_private_segment_size 0
		.amdhsa_wavefront_size32 1
		.amdhsa_uses_dynamic_stack 0
		.amdhsa_enable_private_segment 0
		.amdhsa_system_sgpr_workgroup_id_x 1
		.amdhsa_system_sgpr_workgroup_id_y 0
		.amdhsa_system_sgpr_workgroup_id_z 0
		.amdhsa_system_sgpr_workgroup_info 0
		.amdhsa_system_vgpr_workitem_id 0
		.amdhsa_next_free_vgpr 219
		.amdhsa_next_free_sgpr 16
		.amdhsa_reserve_vcc 1
		.amdhsa_float_round_mode_32 0
		.amdhsa_float_round_mode_16_64 0
		.amdhsa_float_denorm_mode_32 3
		.amdhsa_float_denorm_mode_16_64 3
		.amdhsa_fp16_overflow 0
		.amdhsa_workgroup_processor_mode 1
		.amdhsa_memory_ordered 1
		.amdhsa_forward_progress 0
		.amdhsa_round_robin_scheduling 0
		.amdhsa_exception_fp_ieee_invalid_op 0
		.amdhsa_exception_fp_denorm_src 0
		.amdhsa_exception_fp_ieee_div_zero 0
		.amdhsa_exception_fp_ieee_overflow 0
		.amdhsa_exception_fp_ieee_underflow 0
		.amdhsa_exception_fp_ieee_inexact 0
		.amdhsa_exception_int_div_zero 0
	.end_amdhsa_kernel
	.text
.Lfunc_end0:
	.size	bluestein_single_fwd_len119_dim1_half_op_CI_CI, .Lfunc_end0-bluestein_single_fwd_len119_dim1_half_op_CI_CI
                                        ; -- End function
	.section	.AMDGPU.csdata,"",@progbits
; Kernel info:
; codeLenInByte = 29540
; NumSgprs: 18
; NumVgprs: 219
; ScratchSize: 0
; MemoryBound: 0
; FloatMode: 240
; IeeeMode: 1
; LDSByteSize: 7140 bytes/workgroup (compile time only)
; SGPRBlocks: 2
; VGPRBlocks: 27
; NumSGPRsForWavesPerEU: 18
; NumVGPRsForWavesPerEU: 219
; Occupancy: 6
; WaveLimiterHint : 1
; COMPUTE_PGM_RSRC2:SCRATCH_EN: 0
; COMPUTE_PGM_RSRC2:USER_SGPR: 2
; COMPUTE_PGM_RSRC2:TRAP_HANDLER: 0
; COMPUTE_PGM_RSRC2:TGID_X_EN: 1
; COMPUTE_PGM_RSRC2:TGID_Y_EN: 0
; COMPUTE_PGM_RSRC2:TGID_Z_EN: 0
; COMPUTE_PGM_RSRC2:TIDIG_COMP_CNT: 0
	.text
	.p2alignl 7, 3214868480
	.fill 96, 4, 3214868480
	.type	__hip_cuid_f0871770ebe58d05,@object ; @__hip_cuid_f0871770ebe58d05
	.section	.bss,"aw",@nobits
	.globl	__hip_cuid_f0871770ebe58d05
__hip_cuid_f0871770ebe58d05:
	.byte	0                               ; 0x0
	.size	__hip_cuid_f0871770ebe58d05, 1

	.ident	"AMD clang version 19.0.0git (https://github.com/RadeonOpenCompute/llvm-project roc-6.4.0 25133 c7fe45cf4b819c5991fe208aaa96edf142730f1d)"
	.section	".note.GNU-stack","",@progbits
	.addrsig
	.addrsig_sym __hip_cuid_f0871770ebe58d05
	.amdgpu_metadata
---
amdhsa.kernels:
  - .args:
      - .actual_access:  read_only
        .address_space:  global
        .offset:         0
        .size:           8
        .value_kind:     global_buffer
      - .actual_access:  read_only
        .address_space:  global
        .offset:         8
        .size:           8
        .value_kind:     global_buffer
      - .actual_access:  read_only
        .address_space:  global
        .offset:         16
        .size:           8
        .value_kind:     global_buffer
      - .actual_access:  read_only
        .address_space:  global
        .offset:         24
        .size:           8
        .value_kind:     global_buffer
      - .actual_access:  read_only
        .address_space:  global
        .offset:         32
        .size:           8
        .value_kind:     global_buffer
      - .offset:         40
        .size:           8
        .value_kind:     by_value
      - .address_space:  global
        .offset:         48
        .size:           8
        .value_kind:     global_buffer
      - .address_space:  global
        .offset:         56
        .size:           8
        .value_kind:     global_buffer
      - .address_space:  global
        .offset:         64
        .size:           8
        .value_kind:     global_buffer
      - .address_space:  global
        .offset:         72
        .size:           8
        .value_kind:     global_buffer
      - .offset:         80
        .size:           4
        .value_kind:     by_value
      - .address_space:  global
        .offset:         88
        .size:           8
        .value_kind:     global_buffer
      - .address_space:  global
        .offset:         96
        .size:           8
        .value_kind:     global_buffer
    .group_segment_fixed_size: 7140
    .kernarg_segment_align: 8
    .kernarg_segment_size: 104
    .language:       OpenCL C
    .language_version:
      - 2
      - 0
    .max_flat_workgroup_size: 255
    .name:           bluestein_single_fwd_len119_dim1_half_op_CI_CI
    .private_segment_fixed_size: 0
    .sgpr_count:     18
    .sgpr_spill_count: 0
    .symbol:         bluestein_single_fwd_len119_dim1_half_op_CI_CI.kd
    .uniform_work_group_size: 1
    .uses_dynamic_stack: false
    .vgpr_count:     219
    .vgpr_spill_count: 0
    .wavefront_size: 32
    .workgroup_processor_mode: 1
amdhsa.target:   amdgcn-amd-amdhsa--gfx1201
amdhsa.version:
  - 1
  - 2
...

	.end_amdgpu_metadata
